;; amdgpu-corpus repo=ROCm/rocFFT kind=compiled arch=gfx1030 opt=O3
	.text
	.amdgcn_target "amdgcn-amd-amdhsa--gfx1030"
	.amdhsa_code_object_version 6
	.protected	fft_rtc_back_len480_factors_10_8_6_wgs_64_tpt_16_halfLds_sp_ip_CI_sbrr_dirReg ; -- Begin function fft_rtc_back_len480_factors_10_8_6_wgs_64_tpt_16_halfLds_sp_ip_CI_sbrr_dirReg
	.globl	fft_rtc_back_len480_factors_10_8_6_wgs_64_tpt_16_halfLds_sp_ip_CI_sbrr_dirReg
	.p2align	8
	.type	fft_rtc_back_len480_factors_10_8_6_wgs_64_tpt_16_halfLds_sp_ip_CI_sbrr_dirReg,@function
fft_rtc_back_len480_factors_10_8_6_wgs_64_tpt_16_halfLds_sp_ip_CI_sbrr_dirReg: ; @fft_rtc_back_len480_factors_10_8_6_wgs_64_tpt_16_halfLds_sp_ip_CI_sbrr_dirReg
; %bb.0:
	s_clause 0x2
	s_load_dwordx2 s[14:15], s[4:5], 0x18
	s_load_dwordx4 s[8:11], s[4:5], 0x0
	s_load_dwordx2 s[12:13], s[4:5], 0x50
	v_lshrrev_b32_e32 v23, 4, v0
	v_mov_b32_e32 v3, 0
	v_mov_b32_e32 v1, 0
	;; [unrolled: 1-line block ×3, first 2 shown]
	v_lshl_or_b32 v5, s6, 2, v23
	v_mov_b32_e32 v6, v3
	s_waitcnt lgkmcnt(0)
	s_load_dwordx2 s[2:3], s[14:15], 0x0
	v_cmp_lt_u64_e64 s0, s[10:11], 2
	s_and_b32 vcc_lo, exec_lo, s0
	s_cbranch_vccnz .LBB0_8
; %bb.1:
	s_load_dwordx2 s[0:1], s[4:5], 0x10
	v_mov_b32_e32 v1, 0
	s_add_u32 s6, s14, 8
	v_mov_b32_e32 v2, 0
	s_addc_u32 s7, s15, 0
	s_mov_b64 s[18:19], 1
	s_waitcnt lgkmcnt(0)
	s_add_u32 s16, s0, 8
	s_addc_u32 s17, s1, 0
.LBB0_2:                                ; =>This Inner Loop Header: Depth=1
	s_load_dwordx2 s[20:21], s[16:17], 0x0
                                        ; implicit-def: $vgpr7_vgpr8
	s_mov_b32 s0, exec_lo
	s_waitcnt lgkmcnt(0)
	v_or_b32_e32 v4, s21, v6
	v_cmpx_ne_u64_e32 0, v[3:4]
	s_xor_b32 s1, exec_lo, s0
	s_cbranch_execz .LBB0_4
; %bb.3:                                ;   in Loop: Header=BB0_2 Depth=1
	v_cvt_f32_u32_e32 v4, s20
	v_cvt_f32_u32_e32 v7, s21
	s_sub_u32 s0, 0, s20
	s_subb_u32 s22, 0, s21
	v_fmac_f32_e32 v4, 0x4f800000, v7
	v_rcp_f32_e32 v4, v4
	v_mul_f32_e32 v4, 0x5f7ffffc, v4
	v_mul_f32_e32 v7, 0x2f800000, v4
	v_trunc_f32_e32 v7, v7
	v_fmac_f32_e32 v4, 0xcf800000, v7
	v_cvt_u32_f32_e32 v7, v7
	v_cvt_u32_f32_e32 v4, v4
	v_mul_lo_u32 v8, s0, v7
	v_mul_hi_u32 v9, s0, v4
	v_mul_lo_u32 v10, s22, v4
	v_add_nc_u32_e32 v8, v9, v8
	v_mul_lo_u32 v9, s0, v4
	v_add_nc_u32_e32 v8, v8, v10
	v_mul_hi_u32 v10, v4, v9
	v_mul_lo_u32 v11, v4, v8
	v_mul_hi_u32 v12, v4, v8
	v_mul_hi_u32 v13, v7, v9
	v_mul_lo_u32 v9, v7, v9
	v_mul_hi_u32 v14, v7, v8
	v_mul_lo_u32 v8, v7, v8
	v_add_co_u32 v10, vcc_lo, v10, v11
	v_add_co_ci_u32_e32 v11, vcc_lo, 0, v12, vcc_lo
	v_add_co_u32 v9, vcc_lo, v10, v9
	v_add_co_ci_u32_e32 v9, vcc_lo, v11, v13, vcc_lo
	v_add_co_ci_u32_e32 v10, vcc_lo, 0, v14, vcc_lo
	v_add_co_u32 v8, vcc_lo, v9, v8
	v_add_co_ci_u32_e32 v9, vcc_lo, 0, v10, vcc_lo
	v_add_co_u32 v4, vcc_lo, v4, v8
	v_add_co_ci_u32_e32 v7, vcc_lo, v7, v9, vcc_lo
	v_mul_hi_u32 v8, s0, v4
	v_mul_lo_u32 v10, s22, v4
	v_mul_lo_u32 v9, s0, v7
	v_add_nc_u32_e32 v8, v8, v9
	v_mul_lo_u32 v9, s0, v4
	v_add_nc_u32_e32 v8, v8, v10
	v_mul_hi_u32 v10, v4, v9
	v_mul_lo_u32 v11, v4, v8
	v_mul_hi_u32 v12, v4, v8
	v_mul_hi_u32 v13, v7, v9
	v_mul_lo_u32 v9, v7, v9
	v_mul_hi_u32 v14, v7, v8
	v_mul_lo_u32 v8, v7, v8
	v_add_co_u32 v10, vcc_lo, v10, v11
	v_add_co_ci_u32_e32 v11, vcc_lo, 0, v12, vcc_lo
	v_add_co_u32 v9, vcc_lo, v10, v9
	v_add_co_ci_u32_e32 v9, vcc_lo, v11, v13, vcc_lo
	v_add_co_ci_u32_e32 v10, vcc_lo, 0, v14, vcc_lo
	v_add_co_u32 v8, vcc_lo, v9, v8
	v_add_co_ci_u32_e32 v9, vcc_lo, 0, v10, vcc_lo
	v_add_co_u32 v4, vcc_lo, v4, v8
	v_add_co_ci_u32_e32 v11, vcc_lo, v7, v9, vcc_lo
	v_mul_hi_u32 v13, v5, v4
	v_mad_u64_u32 v[9:10], null, v6, v4, 0
	v_mad_u64_u32 v[7:8], null, v5, v11, 0
	;; [unrolled: 1-line block ×3, first 2 shown]
	v_add_co_u32 v4, vcc_lo, v13, v7
	v_add_co_ci_u32_e32 v7, vcc_lo, 0, v8, vcc_lo
	v_add_co_u32 v4, vcc_lo, v4, v9
	v_add_co_ci_u32_e32 v4, vcc_lo, v7, v10, vcc_lo
	v_add_co_ci_u32_e32 v7, vcc_lo, 0, v12, vcc_lo
	v_add_co_u32 v4, vcc_lo, v4, v11
	v_add_co_ci_u32_e32 v9, vcc_lo, 0, v7, vcc_lo
	v_mul_lo_u32 v10, s21, v4
	v_mad_u64_u32 v[7:8], null, s20, v4, 0
	v_mul_lo_u32 v11, s20, v9
	v_sub_co_u32 v7, vcc_lo, v5, v7
	v_add3_u32 v8, v8, v11, v10
	v_sub_nc_u32_e32 v10, v6, v8
	v_subrev_co_ci_u32_e64 v10, s0, s21, v10, vcc_lo
	v_add_co_u32 v11, s0, v4, 2
	v_add_co_ci_u32_e64 v12, s0, 0, v9, s0
	v_sub_co_u32 v13, s0, v7, s20
	v_sub_co_ci_u32_e32 v8, vcc_lo, v6, v8, vcc_lo
	v_subrev_co_ci_u32_e64 v10, s0, 0, v10, s0
	v_cmp_le_u32_e32 vcc_lo, s20, v13
	v_cmp_eq_u32_e64 s0, s21, v8
	v_cndmask_b32_e64 v13, 0, -1, vcc_lo
	v_cmp_le_u32_e32 vcc_lo, s21, v10
	v_cndmask_b32_e64 v14, 0, -1, vcc_lo
	v_cmp_le_u32_e32 vcc_lo, s20, v7
	;; [unrolled: 2-line block ×3, first 2 shown]
	v_cndmask_b32_e64 v15, 0, -1, vcc_lo
	v_cmp_eq_u32_e32 vcc_lo, s21, v10
	v_cndmask_b32_e64 v7, v15, v7, s0
	v_cndmask_b32_e32 v10, v14, v13, vcc_lo
	v_add_co_u32 v13, vcc_lo, v4, 1
	v_add_co_ci_u32_e32 v14, vcc_lo, 0, v9, vcc_lo
	v_cmp_ne_u32_e32 vcc_lo, 0, v10
	v_cndmask_b32_e32 v8, v14, v12, vcc_lo
	v_cndmask_b32_e32 v10, v13, v11, vcc_lo
	v_cmp_ne_u32_e32 vcc_lo, 0, v7
	v_cndmask_b32_e32 v8, v9, v8, vcc_lo
	v_cndmask_b32_e32 v7, v4, v10, vcc_lo
.LBB0_4:                                ;   in Loop: Header=BB0_2 Depth=1
	s_andn2_saveexec_b32 s0, s1
	s_cbranch_execz .LBB0_6
; %bb.5:                                ;   in Loop: Header=BB0_2 Depth=1
	v_cvt_f32_u32_e32 v4, s20
	s_sub_i32 s1, 0, s20
	v_rcp_iflag_f32_e32 v4, v4
	v_mul_f32_e32 v4, 0x4f7ffffe, v4
	v_cvt_u32_f32_e32 v4, v4
	v_mul_lo_u32 v7, s1, v4
	v_mul_hi_u32 v7, v4, v7
	v_add_nc_u32_e32 v4, v4, v7
	v_mul_hi_u32 v4, v5, v4
	v_mul_lo_u32 v7, v4, s20
	v_add_nc_u32_e32 v8, 1, v4
	v_sub_nc_u32_e32 v7, v5, v7
	v_subrev_nc_u32_e32 v9, s20, v7
	v_cmp_le_u32_e32 vcc_lo, s20, v7
	v_cndmask_b32_e32 v7, v7, v9, vcc_lo
	v_cndmask_b32_e32 v4, v4, v8, vcc_lo
	v_cmp_le_u32_e32 vcc_lo, s20, v7
	v_add_nc_u32_e32 v8, 1, v4
	v_cndmask_b32_e32 v7, v4, v8, vcc_lo
	v_mov_b32_e32 v8, v3
.LBB0_6:                                ;   in Loop: Header=BB0_2 Depth=1
	s_or_b32 exec_lo, exec_lo, s0
	s_load_dwordx2 s[0:1], s[6:7], 0x0
	v_mul_lo_u32 v4, v8, s20
	v_mul_lo_u32 v11, v7, s21
	v_mad_u64_u32 v[9:10], null, v7, s20, 0
	s_add_u32 s18, s18, 1
	s_addc_u32 s19, s19, 0
	s_add_u32 s6, s6, 8
	s_addc_u32 s7, s7, 0
	;; [unrolled: 2-line block ×3, first 2 shown]
	v_add3_u32 v4, v10, v11, v4
	v_sub_co_u32 v5, vcc_lo, v5, v9
	v_sub_co_ci_u32_e32 v4, vcc_lo, v6, v4, vcc_lo
	s_waitcnt lgkmcnt(0)
	v_mul_lo_u32 v6, s1, v5
	v_mul_lo_u32 v4, s0, v4
	v_mad_u64_u32 v[1:2], null, s0, v5, v[1:2]
	v_cmp_ge_u64_e64 s0, s[18:19], s[10:11]
	s_and_b32 vcc_lo, exec_lo, s0
	v_add3_u32 v2, v6, v2, v4
	s_cbranch_vccnz .LBB0_9
; %bb.7:                                ;   in Loop: Header=BB0_2 Depth=1
	v_mov_b32_e32 v5, v7
	v_mov_b32_e32 v6, v8
	s_branch .LBB0_2
.LBB0_8:
	v_mov_b32_e32 v8, v6
	v_mov_b32_e32 v7, v5
.LBB0_9:
	s_lshl_b64 s[0:1], s[10:11], 3
	v_and_b32_e32 v119, 15, v0
	s_add_u32 s0, s14, s0
	s_addc_u32 s1, s15, s1
                                        ; implicit-def: $vgpr121
                                        ; implicit-def: $vgpr122
                                        ; implicit-def: $vgpr123
	s_load_dwordx2 s[0:1], s[0:1], 0x0
	s_load_dwordx2 s[4:5], s[4:5], 0x20
	v_or_b32_e32 v113, 16, v119
	v_or_b32_e32 v105, 32, v119
	;; [unrolled: 1-line block ×3, first 2 shown]
	s_waitcnt lgkmcnt(0)
	v_mul_lo_u32 v3, s0, v8
	v_mul_lo_u32 v4, s1, v7
	v_mad_u64_u32 v[0:1], null, s0, v7, v[1:2]
	v_cmp_gt_u64_e32 vcc_lo, s[4:5], v[7:8]
	v_cmp_le_u64_e64 s0, s[4:5], v[7:8]
	v_add3_u32 v1, v4, v1, v3
	s_and_saveexec_b32 s1, s0
	s_xor_b32 s0, exec_lo, s1
; %bb.10:
	v_or_b32_e32 v121, 16, v119
	v_or_b32_e32 v122, 32, v119
	;; [unrolled: 1-line block ×3, first 2 shown]
; %bb.11:
	s_or_saveexec_b32 s1, s0
	v_lshlrev_b64 v[24:25], 3, v[0:1]
	v_or_b32_e32 v114, 0x60, v119
	v_or_b32_e32 v94, 0x90, v119
	v_or_b32_e32 v107, 0xc0, v119
	v_or_b32_e32 v117, 0xf0, v119
	v_or_b32_e32 v98, 0x120, v119
	v_or_b32_e32 v110, 0x150, v119
	v_or_b32_e32 v91, 0x180, v119
	v_or_b32_e32 v103, 0x1b0, v119
	v_or_b32_e32 v96, 64, v119
	v_or_b32_e32 v108, 0x70, v119
	v_or_b32_e32 v118, 0xa0, v119
	v_or_b32_e32 v100, 0xd0, v119
	v_or_b32_e32 v111, 0x100, v119
	v_or_b32_e32 v93, 0x130, v119
	v_or_b32_e32 v104, 0x160, v119
	v_or_b32_e32 v115, 0x190, v119
	v_or_b32_e32 v97, 0x1c0, v119
	v_or_b32_e32 v120, 0x50, v119
	v_or_b32_e32 v102, 0x80, v119
	v_or_b32_e32 v112, 0xb0, v119
	v_or_b32_e32 v95, 0xe0, v119
	v_or_b32_e32 v106, 0x110, v119
	v_or_b32_e32 v116, 0x140, v119
	v_or_b32_e32 v99, 0x170, v119
	v_or_b32_e32 v109, 0x1a0, v119
	v_or_b32_e32 v92, 0x1d0, v119
                                        ; implicit-def: $vgpr40
                                        ; implicit-def: $vgpr56
                                        ; implicit-def: $vgpr60
                                        ; implicit-def: $vgpr64
                                        ; implicit-def: $vgpr66
                                        ; implicit-def: $vgpr62
                                        ; implicit-def: $vgpr68
                                        ; implicit-def: $vgpr70
                                        ; implicit-def: $vgpr58
                                        ; implicit-def: $vgpr32
                                        ; implicit-def: $vgpr36
                                        ; implicit-def: $vgpr42
                                        ; implicit-def: $vgpr46
                                        ; implicit-def: $vgpr48
                                        ; implicit-def: $vgpr50
                                        ; implicit-def: $vgpr44
                                        ; implicit-def: $vgpr52
                                        ; implicit-def: $vgpr38
                                        ; implicit-def: $vgpr8
                                        ; implicit-def: $vgpr5
                                        ; implicit-def: $vgpr18
                                        ; implicit-def: $vgpr20
                                        ; implicit-def: $vgpr14
                                        ; implicit-def: $vgpr22
                                        ; implicit-def: $vgpr12
                                        ; implicit-def: $vgpr34
                                        ; implicit-def: $vgpr10
                                        ; implicit-def: $vgpr16
                                        ; implicit-def: $vgpr54
                                        ; implicit-def: $vgpr72
	s_xor_b32 exec_lo, exec_lo, s1
	s_cbranch_execz .LBB0_13
; %bb.12:
	v_mad_u64_u32 v[2:3], null, s2, v119, 0
	v_mad_u64_u32 v[4:5], null, s2, v101, 0
	;; [unrolled: 1-line block ×4, first 2 shown]
	v_mov_b32_e32 v0, v3
	v_mad_u64_u32 v[29:30], null, s2, v113, 0
	v_mov_b32_e32 v1, v5
	v_mad_u64_u32 v[34:35], null, s2, v108, 0
	v_mad_u64_u32 v[36:37], null, s2, v118, 0
	;; [unrolled: 1-line block ×4, first 2 shown]
	v_mov_b32_e32 v0, v7
	v_mad_u64_u32 v[11:12], null, s3, v101, v[1:2]
	v_mad_u64_u32 v[38:39], null, s2, v100, 0
	;; [unrolled: 1-line block ×3, first 2 shown]
	v_mov_b32_e32 v3, v8
	v_mad_u64_u32 v[13:14], null, s2, v107, 0
	v_mov_b32_e32 v8, v10
	v_mov_b32_e32 v5, v11
	v_lshlrev_b64 v[2:3], 3, v[2:3]
	v_mov_b32_e32 v7, v12
	v_add_co_u32 v0, s0, s12, v24
	v_mad_u64_u32 v[10:11], null, s3, v94, v[8:9]
	v_mad_u64_u32 v[11:12], null, s2, v117, 0
	v_mov_b32_e32 v8, v14
	v_add_co_ci_u32_e64 v1, s0, s13, v25, s0
	v_lshlrev_b64 v[4:5], 3, v[4:5]
	v_add_co_u32 v2, s0, v0, v2
	v_mad_u64_u32 v[14:15], null, s3, v107, v[8:9]
	v_lshlrev_b64 v[9:10], 3, v[9:10]
	v_lshlrev_b64 v[6:7], 3, v[6:7]
	v_mov_b32_e32 v8, v12
	v_mad_u64_u32 v[15:16], null, s2, v98, 0
	v_add_co_ci_u32_e64 v3, s0, v1, v3, s0
	v_add_co_u32 v4, s0, v0, v4
	v_add_co_ci_u32_e64 v5, s0, v1, v5, s0
	v_mad_u64_u32 v[17:18], null, s3, v117, v[8:9]
	v_add_co_u32 v6, s0, v0, v6
	v_mad_u64_u32 v[18:19], null, s2, v110, 0
	v_add_co_ci_u32_e64 v7, s0, v1, v7, s0
	v_mov_b32_e32 v8, v16
	v_add_co_u32 v9, s0, v0, v9
	v_mov_b32_e32 v12, v17
	v_lshlrev_b64 v[13:14], 3, v[13:14]
	v_add_co_ci_u32_e64 v10, s0, v1, v10, s0
	v_mad_u64_u32 v[16:17], null, s3, v98, v[8:9]
	v_mov_b32_e32 v8, v19
	v_lshlrev_b64 v[11:12], 3, v[11:12]
	v_add_co_u32 v13, s0, v0, v13
	v_add_co_ci_u32_e64 v14, s0, v1, v14, s0
	v_mad_u64_u32 v[26:27], null, s3, v110, v[8:9]
	v_mad_u64_u32 v[27:28], null, s2, v103, 0
	v_mov_b32_e32 v8, v21
	v_lshlrev_b64 v[15:16], 3, v[15:16]
	v_add_co_u32 v11, s0, v0, v11
	v_mov_b32_e32 v19, v26
	v_mad_u64_u32 v[21:22], null, s3, v91, v[8:9]
	v_mov_b32_e32 v8, v28
	v_add_co_ci_u32_e64 v12, s0, v1, v12, s0
	v_lshlrev_b64 v[17:18], 3, v[18:19]
	v_add_co_u32 v15, s0, v0, v15
	v_mad_u64_u32 v[31:32], null, s3, v103, v[8:9]
	v_mov_b32_e32 v8, v30
	v_mad_u64_u32 v[32:33], null, s2, v96, 0
	v_lshlrev_b64 v[19:20], 3, v[20:21]
	v_add_co_ci_u32_e64 v16, s0, v1, v16, s0
	v_mad_u64_u32 v[21:22], null, s3, v113, v[8:9]
	v_mov_b32_e32 v28, v31
	v_mov_b32_e32 v8, v33
	v_add_co_u32 v17, s0, v0, v17
	v_add_co_ci_u32_e64 v18, s0, v1, v18, s0
	v_mov_b32_e32 v30, v21
	v_mad_u64_u32 v[21:22], null, s3, v96, v[8:9]
	v_mov_b32_e32 v8, v35
	v_lshlrev_b64 v[26:27], 3, v[27:28]
	v_add_co_u32 v19, s0, v0, v19
	v_lshlrev_b64 v[28:29], 3, v[29:30]
	v_add_co_ci_u32_e64 v20, s0, v1, v20, s0
	v_mov_b32_e32 v33, v21
	v_mad_u64_u32 v[21:22], null, s3, v108, v[8:9]
	v_mov_b32_e32 v8, v37
	v_add_co_u32 v26, s0, v0, v26
	v_lshlrev_b64 v[30:31], 3, v[32:33]
	v_add_co_ci_u32_e64 v27, s0, v1, v27, s0
	v_mad_u64_u32 v[32:33], null, s3, v118, v[8:9]
	v_add_co_u32 v28, s0, v0, v28
	v_mov_b32_e32 v35, v21
	v_add_co_ci_u32_e64 v29, s0, v1, v29, s0
	v_add_co_u32 v21, s0, v0, v30
	v_add_co_ci_u32_e64 v22, s0, v1, v31, s0
	v_lshlrev_b64 v[30:31], 3, v[34:35]
	v_mov_b32_e32 v37, v32
	v_mad_u64_u32 v[32:33], null, s2, v111, 0
	v_mov_b32_e32 v8, v39
	v_mad_u64_u32 v[34:35], null, s2, v93, 0
	v_add_co_u32 v41, s0, v0, v30
	v_mad_u64_u32 v[39:40], null, s3, v100, v[8:9]
	v_add_co_ci_u32_e64 v42, s0, v1, v31, s0
	v_lshlrev_b64 v[30:31], 3, v[36:37]
	v_mov_b32_e32 v8, v33
	v_mov_b32_e32 v33, v35
	v_mad_u64_u32 v[52:53], null, s2, v112, 0
	v_mad_u64_u32 v[54:55], null, s2, v99, 0
	v_add_co_u32 v43, s0, v0, v30
	v_mad_u64_u32 v[35:36], null, s3, v111, v[8:9]
	v_mad_u64_u32 v[36:37], null, s3, v93, v[33:34]
	v_add_co_ci_u32_e64 v44, s0, v1, v31, s0
	v_lshlrev_b64 v[30:31], 3, v[38:39]
	v_mad_u64_u32 v[37:38], null, s2, v104, 0
	v_mad_u64_u32 v[39:40], null, s2, v115, 0
	v_mov_b32_e32 v33, v35
	v_add_co_u32 v47, s0, v0, v30
	v_add_co_ci_u32_e64 v48, s0, v1, v31, s0
	v_mad_u64_u32 v[30:31], null, s2, v97, 0
	v_mov_b32_e32 v35, v36
	v_mov_b32_e32 v8, v38
	;; [unrolled: 1-line block ×3, first 2 shown]
	v_lshlrev_b64 v[32:33], 3, v[32:33]
	v_mad_u64_u32 v[56:57], null, s2, v92, 0
	v_mad_u64_u32 v[45:46], null, s3, v104, v[8:9]
	;; [unrolled: 1-line block ×3, first 2 shown]
	v_mov_b32_e32 v8, v31
	v_lshlrev_b64 v[34:35], 3, v[34:35]
	v_add_co_u32 v50, s0, v0, v32
	v_add_co_ci_u32_e64 v51, s0, v1, v33, s0
	v_mad_u64_u32 v[31:32], null, s3, v97, v[8:9]
	v_mov_b32_e32 v38, v45
	v_mov_b32_e32 v40, v49
	v_mad_u64_u32 v[32:33], null, s2, v105, 0
	v_add_co_u32 v73, s0, v0, v34
	v_add_co_ci_u32_e64 v74, s0, v1, v35, s0
	v_lshlrev_b64 v[34:35], 3, v[37:38]
	v_lshlrev_b64 v[36:37], 3, v[39:40]
	v_mad_u64_u32 v[38:39], null, s2, v120, 0
	v_mov_b32_e32 v8, v33
	v_lshlrev_b64 v[30:31], 3, v[30:31]
	v_add_co_u32 v75, s0, v0, v34
	v_add_co_ci_u32_e64 v76, s0, v1, v35, s0
	v_mad_u64_u32 v[45:46], null, s3, v105, v[8:9]
	v_mov_b32_e32 v8, v39
	v_add_co_u32 v77, s0, v0, v36
	v_mad_u64_u32 v[34:35], null, s2, v102, 0
	v_add_co_ci_u32_e64 v78, s0, v1, v37, s0
	v_mad_u64_u32 v[36:37], null, s3, v120, v[8:9]
	v_mov_b32_e32 v33, v45
	v_add_co_u32 v79, s0, v0, v30
	v_mov_b32_e32 v8, v53
	v_add_co_ci_u32_e64 v80, s0, v1, v31, s0
	v_mad_u64_u32 v[45:46], null, s3, v102, v[35:36]
	v_lshlrev_b64 v[32:33], 3, v[32:33]
	v_mov_b32_e32 v39, v36
	v_mov_b32_e32 v35, v45
	v_add_co_u32 v81, s0, v0, v32
	v_add_co_ci_u32_e64 v82, s0, v1, v33, s0
	v_mad_u64_u32 v[32:33], null, s3, v112, v[8:9]
	v_lshlrev_b64 v[33:34], 3, v[34:35]
	v_mad_u64_u32 v[35:36], null, s2, v95, 0
	v_lshlrev_b64 v[30:31], 3, v[38:39]
	v_mad_u64_u32 v[37:38], null, s2, v106, 0
	v_mov_b32_e32 v53, v32
	v_mov_b32_e32 v8, v36
	v_add_co_u32 v83, s0, v0, v30
	v_add_co_ci_u32_e64 v84, s0, v1, v31, s0
	v_mad_u64_u32 v[31:32], null, s3, v95, v[8:9]
	v_mov_b32_e32 v30, v38
	v_lshlrev_b64 v[38:39], 3, v[52:53]
	v_mad_u64_u32 v[52:53], null, s2, v116, 0
	v_add_co_u32 v33, s0, v0, v33
	v_mad_u64_u32 v[45:46], null, s3, v106, v[30:31]
	v_mov_b32_e32 v36, v31
	v_add_co_ci_u32_e64 v34, s0, v1, v34, s0
	v_add_co_u32 v85, s0, v0, v38
	v_mov_b32_e32 v8, v53
	v_mov_b32_e32 v38, v45
	v_mad_u64_u32 v[45:46], null, s2, v109, 0
	v_lshlrev_b64 v[31:32], 3, v[35:36]
	v_mov_b32_e32 v30, v55
	v_mad_u64_u32 v[35:36], null, s3, v116, v[8:9]
	v_add_co_ci_u32_e64 v86, s0, v1, v39, s0
	v_mad_u64_u32 v[39:40], null, s3, v99, v[30:31]
	v_mov_b32_e32 v8, v46
	v_add_co_u32 v87, s0, v0, v31
	v_add_co_ci_u32_e64 v88, s0, v1, v32, s0
	v_mov_b32_e32 v32, v57
	v_mov_b32_e32 v53, v35
	v_lshlrev_b64 v[30:31], 3, v[37:38]
	v_mad_u64_u32 v[37:38], null, s3, v109, v[8:9]
	v_mov_b32_e32 v55, v39
	v_mad_u64_u32 v[38:39], null, s3, v92, v[32:33]
	v_lshlrev_b64 v[35:36], 3, v[52:53]
	v_add_co_u32 v89, s0, v0, v30
	v_add_co_ci_u32_e64 v90, s0, v1, v31, s0
	v_lshlrev_b64 v[30:31], 3, v[54:55]
	v_mov_b32_e32 v46, v37
	v_add_co_u32 v121, s0, v0, v35
	v_mov_b32_e32 v57, v38
	v_add_co_ci_u32_e64 v122, s0, v1, v36, s0
	v_lshlrev_b64 v[35:36], 3, v[45:46]
	v_add_co_u32 v123, s0, v0, v30
	v_add_co_ci_u32_e64 v124, s0, v1, v31, s0
	v_lshlrev_b64 v[30:31], 3, v[56:57]
	v_add_co_u32 v125, s0, v0, v35
	v_add_co_ci_u32_e64 v126, s0, v1, v36, s0
	v_add_co_u32 v0, s0, v0, v30
	v_add_co_ci_u32_e64 v1, s0, v1, v31, s0
	s_clause 0x1d
	global_load_dwordx2 v[39:40], v[2:3], off
	global_load_dwordx2 v[55:56], v[4:5], off
	;; [unrolled: 1-line block ×30, first 2 shown]
	v_mov_b32_e32 v123, v101
	v_mov_b32_e32 v122, v105
	;; [unrolled: 1-line block ×3, first 2 shown]
.LBB0_13:
	s_or_b32 exec_lo, exec_lo, s1
	s_waitcnt vmcnt(23)
	v_add_f32_e32 v1, v65, v67
	v_add_f32_e32 v2, v39, v59
	s_waitcnt vmcnt(21)
	v_sub_f32_e32 v3, v60, v70
	v_sub_f32_e32 v6, v69, v67
	v_mul_u32_u24_e32 v0, 0x1e0, v23
	v_fma_f32 v30, -0.5, v1, v39
	v_sub_f32_e32 v1, v59, v65
	v_sub_f32_e32 v23, v66, v68
	v_add_f32_e32 v26, v59, v69
	v_add_f32_e32 v2, v2, v65
	v_fmamk_f32 v73, v3, 0xbf737871, v30
	v_sub_f32_e32 v27, v65, v59
	v_add_f32_e32 v1, v1, v6
	v_sub_f32_e32 v6, v67, v69
	v_fmac_f32_e32 v30, 0x3f737871, v3
	v_fmac_f32_e32 v39, -0.5, v26
	v_add_f32_e32 v2, v2, v67
	v_fmac_f32_e32 v73, 0xbf167918, v23
	v_add_f32_e32 v26, v27, v6
	v_fmac_f32_e32 v30, 0x3f167918, v23
	v_add_f32_e32 v27, v55, v63
	v_fmamk_f32 v74, v23, 0x3f737871, v39
	v_add_f32_e32 v29, v2, v69
	v_fmac_f32_e32 v73, 0x3e9e377a, v1
	v_add_f32_e32 v2, v61, v71
	v_fmac_f32_e32 v30, 0x3e9e377a, v1
	v_fmac_f32_e32 v39, 0xbf737871, v23
	v_add_f32_e32 v1, v27, v61
	v_fmac_f32_e32 v74, 0xbf167918, v3
	v_fma_f32 v6, -0.5, v2, v55
	s_waitcnt vmcnt(20)
	v_sub_f32_e32 v2, v64, v58
	v_fmac_f32_e32 v39, 0x3f167918, v3
	v_add_f32_e32 v1, v1, v71
	v_add_f32_e32 v3, v63, v57
	v_sub_f32_e32 v27, v62, v72
	v_fmamk_f32 v23, v2, 0xbf737871, v6
	v_sub_f32_e32 v28, v63, v61
	v_sub_f32_e32 v75, v57, v71
	v_fmac_f32_e32 v6, 0x3f737871, v2
	v_fmac_f32_e32 v55, -0.5, v3
	v_add_f32_e32 v3, v57, v1
	v_add_f32_e32 v1, v62, v72
	v_fmac_f32_e32 v23, 0xbf167918, v27
	v_add_f32_e32 v28, v28, v75
	v_fmac_f32_e32 v6, 0x3f167918, v27
	v_sub_f32_e32 v75, v71, v57
	v_fma_f32 v132, -0.5, v1, v56
	v_sub_f32_e32 v1, v63, v57
	v_add_f32_e32 v57, v64, v58
	v_fmac_f32_e32 v23, 0x3e9e377a, v28
	v_fmac_f32_e32 v6, 0x3e9e377a, v28
	v_sub_f32_e32 v28, v61, v71
	v_fmac_f32_e32 v74, 0x3e9e377a, v26
	v_fma_f32 v134, -0.5, v57, v56
	v_fmac_f32_e32 v39, 0x3e9e377a, v26
	v_sub_f32_e32 v26, v61, v63
	v_sub_f32_e32 v57, v64, v62
	;; [unrolled: 1-line block ×3, first 2 shown]
	v_fmamk_f32 v135, v28, 0xbf737871, v134
	v_sub_f32_e32 v63, v62, v64
	v_sub_f32_e32 v71, v72, v58
	v_fmac_f32_e32 v134, 0x3f737871, v28
	v_fmamk_f32 v131, v27, 0x3f737871, v55
	v_fmamk_f32 v133, v1, 0x3f737871, v132
	v_add_f32_e32 v57, v57, v61
	v_fmac_f32_e32 v132, 0xbf737871, v1
	v_fmac_f32_e32 v135, 0x3f167918, v1
	v_add_f32_e32 v61, v63, v71
	v_fmac_f32_e32 v55, 0xbf737871, v27
	v_fmac_f32_e32 v134, 0xbf167918, v1
	;; [unrolled: 1-line block ×3, first 2 shown]
	v_add_f32_e32 v26, v26, v75
	v_fmac_f32_e32 v133, 0x3f167918, v28
	v_fmac_f32_e32 v132, 0xbf167918, v28
	v_fmac_f32_e32 v135, 0x3e9e377a, v61
	v_fmac_f32_e32 v55, 0x3f167918, v2
	v_fmac_f32_e32 v134, 0x3e9e377a, v61
	v_fmac_f32_e32 v131, 0x3e9e377a, v26
	v_fmac_f32_e32 v133, 0x3e9e377a, v57
	v_fmac_f32_e32 v132, 0x3e9e377a, v57
	v_mul_f32_e32 v61, 0xbf737871, v135
	v_fmac_f32_e32 v55, 0x3e9e377a, v26
	v_mul_f32_e32 v63, 0xbf737871, v134
	v_mul_f32_e32 v57, 0xbf167918, v133
	;; [unrolled: 1-line block ×3, first 2 shown]
	v_fmac_f32_e32 v61, 0x3e9e377a, v131
	s_waitcnt vmcnt(13)
	v_add_f32_e32 v75, v47, v49
	v_fmac_f32_e32 v63, 0xbe9e377a, v55
	s_waitcnt vmcnt(11)
	v_add_f32_e32 v78, v41, v51
	v_fmac_f32_e32 v57, 0x3f4f1bbd, v23
	v_add_f32_e32 v1, v29, v3
	v_fmac_f32_e32 v71, 0xbf4f1bbd, v6
	v_add_f32_e32 v26, v74, v61
	v_add_f32_e32 v27, v39, v63
	v_sub_f32_e32 v29, v29, v3
	v_add_f32_e32 v3, v31, v41
	v_fma_f32 v85, -0.5, v75, v31
	v_sub_f32_e32 v77, v42, v52
	v_sub_f32_e32 v74, v74, v61
	;; [unrolled: 1-line block ×6, first 2 shown]
	v_fmac_f32_e32 v31, -0.5, v78
	v_add_f32_e32 v2, v73, v57
	v_add_f32_e32 v28, v30, v71
	v_sub_f32_e32 v73, v73, v57
	v_fmamk_f32 v57, v77, 0xbf737871, v85
	v_fmac_f32_e32 v85, 0x3f737871, v77
	v_add_f32_e32 v39, v39, v63
	v_sub_f32_e32 v76, v30, v71
	v_fmamk_f32 v63, v61, 0x3f737871, v31
	v_sub_f32_e32 v71, v47, v41
	v_sub_f32_e32 v78, v49, v51
	v_fmac_f32_e32 v31, 0xbf737871, v61
	v_fmac_f32_e32 v57, 0xbf167918, v61
	;; [unrolled: 1-line block ×3, first 2 shown]
	v_add_f32_e32 v30, v43, v53
	v_fmac_f32_e32 v63, 0xbf167918, v77
	v_add_f32_e32 v71, v71, v78
	v_fmac_f32_e32 v31, 0x3f167918, v77
	v_fmac_f32_e32 v57, 0x3e9e377a, v39
	;; [unrolled: 1-line block ×3, first 2 shown]
	v_add_f32_e32 v79, v35, v45
	v_fma_f32 v39, -0.5, v30, v35
	s_waitcnt vmcnt(10)
	v_sub_f32_e32 v30, v46, v38
	v_add_f32_e32 v77, v45, v37
	v_fmac_f32_e32 v63, 0x3e9e377a, v71
	v_fmac_f32_e32 v31, 0x3e9e377a, v71
	v_add_f32_e32 v71, v44, v54
	v_add_f32_e32 v61, v79, v53
	v_fmamk_f32 v136, v30, 0xbf737871, v39
	v_sub_f32_e32 v78, v54, v44
	v_sub_f32_e32 v79, v45, v53
	v_sub_f32_e32 v80, v37, v43
	v_fmac_f32_e32 v35, -0.5, v77
	v_fmac_f32_e32 v39, 0x3f737871, v30
	v_sub_f32_e32 v77, v53, v45
	v_fma_f32 v138, -0.5, v71, v36
	v_sub_f32_e32 v71, v45, v37
	v_add_f32_e32 v45, v46, v38
	v_add_f32_e32 v61, v43, v61
	v_fmac_f32_e32 v136, 0xbf167918, v78
	v_add_f32_e32 v79, v80, v79
	v_sub_f32_e32 v80, v43, v37
	v_fmac_f32_e32 v39, 0x3f167918, v78
	v_sub_f32_e32 v53, v53, v43
	v_fma_f32 v43, -0.5, v45, v36
	v_add_f32_e32 v61, v37, v61
	v_fmac_f32_e32 v136, 0x3e9e377a, v79
	v_fmamk_f32 v137, v78, 0x3f737871, v35
	v_add_f32_e32 v77, v80, v77
	v_fmamk_f32 v37, v71, 0x3f737871, v138
	v_fmac_f32_e32 v39, 0x3e9e377a, v79
	v_fmac_f32_e32 v35, 0xbf737871, v78
	v_sub_f32_e32 v78, v46, v54
	v_sub_f32_e32 v79, v38, v44
	v_fmamk_f32 v45, v53, 0xbf737871, v43
	v_sub_f32_e32 v80, v54, v46
	v_sub_f32_e32 v81, v44, v38
	v_fmac_f32_e32 v43, 0x3f737871, v53
	v_fmac_f32_e32 v138, 0xbf737871, v71
	v_add_f32_e32 v3, v3, v47
	v_fmac_f32_e32 v37, 0x3f167918, v53
	v_add_f32_e32 v78, v79, v78
	;; [unrolled: 2-line block ×3, first 2 shown]
	v_fmac_f32_e32 v43, 0xbf167918, v71
	v_fmac_f32_e32 v138, 0xbf167918, v53
	v_add_f32_e32 v3, v3, v49
	v_fmac_f32_e32 v137, 0xbf167918, v30
	v_fmac_f32_e32 v37, 0x3e9e377a, v78
	;; [unrolled: 1-line block ×6, first 2 shown]
	v_add_f32_e32 v3, v3, v51
	v_fmac_f32_e32 v137, 0x3e9e377a, v77
	v_mul_f32_e32 v30, 0xbf167918, v37
	v_fmac_f32_e32 v35, 0x3e9e377a, v77
	v_mul_f32_e32 v53, 0xbf737871, v45
	v_mul_f32_e32 v71, 0xbf737871, v43
	;; [unrolled: 1-line block ×3, first 2 shown]
	s_waitcnt vmcnt(3)
	v_add_f32_e32 v83, v19, v21
	v_fmac_f32_e32 v30, 0x3f4f1bbd, v136
	v_add_f32_e32 v77, v3, v61
	v_fmac_f32_e32 v53, 0x3e9e377a, v137
	v_fmac_f32_e32 v71, 0xbe9e377a, v35
	;; [unrolled: 1-line block ×3, first 2 shown]
	v_sub_f32_e32 v82, v3, v61
	v_fma_f32 v61, -0.5, v83, v7
	s_waitcnt vmcnt(1)
	v_sub_f32_e32 v3, v18, v34
	v_add_f32_e32 v78, v57, v30
	v_add_f32_e32 v79, v63, v53
	;; [unrolled: 1-line block ×4, first 2 shown]
	v_sub_f32_e32 v83, v57, v30
	v_sub_f32_e32 v84, v63, v53
	;; [unrolled: 1-line block ×4, first 2 shown]
	v_fmamk_f32 v57, v3, 0xbf737871, v61
	v_sub_f32_e32 v53, v20, v22
	v_sub_f32_e32 v63, v17, v19
	;; [unrolled: 1-line block ×3, first 2 shown]
	v_fmac_f32_e32 v61, 0x3f737871, v3
	v_add_f32_e32 v85, v17, v33
	v_lshlrev_b32_e32 v124, 2, v0
	v_add_f32_e32 v86, v7, v17
	v_fmac_f32_e32 v57, 0xbf167918, v53
	v_add_f32_e32 v63, v63, v71
	v_fmac_f32_e32 v61, 0x3f167918, v53
	v_fmac_f32_e32 v7, -0.5, v85
	v_mul_u32_u24_e32 v87, 10, v119
	v_add_nc_u32_e32 v88, 0, v124
	v_fmac_f32_e32 v57, 0x3e9e377a, v63
	v_add_f32_e32 v85, v13, v11
	v_fmac_f32_e32 v61, 0x3e9e377a, v63
	v_fmamk_f32 v63, v53, 0x3f737871, v7
	v_fmac_f32_e32 v7, 0xbf737871, v53
	v_lshl_add_u32 v53, v87, 2, v88
	v_fma_f32 v139, -0.5, v85, v4
	s_waitcnt vmcnt(0)
	v_sub_f32_e32 v85, v16, v10
	v_sub_f32_e32 v71, v19, v17
	;; [unrolled: 1-line block ×3, first 2 shown]
	ds_write2_b64 v53, v[1:2], v[26:27] offset1:1
	v_add_f32_e32 v2, v9, v15
	v_fmamk_f32 v140, v85, 0xbf737871, v139
	v_sub_f32_e32 v1, v14, v12
	v_fmac_f32_e32 v139, 0x3f737871, v85
	v_add_f32_e32 v27, v4, v15
	v_fmac_f32_e32 v4, -0.5, v2
	v_add_f32_e32 v0, v71, v0
	v_fmac_f32_e32 v63, 0xbf167918, v3
	v_fmac_f32_e32 v7, 0x3f167918, v3
	;; [unrolled: 1-line block ×3, first 2 shown]
	v_sub_f32_e32 v2, v13, v15
	v_sub_f32_e32 v71, v11, v9
	v_fmamk_f32 v141, v1, 0x3f737871, v4
	v_fmac_f32_e32 v139, 0x3f167918, v1
	v_fmac_f32_e32 v4, 0xbf737871, v1
	v_add_f32_e32 v1, v14, v12
	v_sub_f32_e32 v3, v15, v13
	v_sub_f32_e32 v26, v9, v11
	v_fmac_f32_e32 v63, 0x3e9e377a, v0
	v_fmac_f32_e32 v7, 0x3e9e377a, v0
	v_add_f32_e32 v0, v71, v2
	v_fmac_f32_e32 v141, 0xbf167918, v85
	v_fmac_f32_e32 v4, 0x3f167918, v85
	v_fma_f32 v142, -0.5, v1, v5
	v_sub_f32_e32 v1, v16, v14
	v_sub_f32_e32 v2, v10, v12
	v_add_f32_e32 v3, v26, v3
	v_fmac_f32_e32 v141, 0x3e9e377a, v0
	v_fmac_f32_e32 v4, 0x3e9e377a, v0
	ds_write2_b64 v53, v[28:29], v[73:74] offset0:2 offset1:3
	v_add_f32_e32 v0, v2, v1
	v_add_f32_e32 v1, v10, v16
	v_fmac_f32_e32 v140, 0x3e9e377a, v3
	v_fmac_f32_e32 v139, 0x3e9e377a, v3
	v_sub_f32_e32 v3, v15, v9
	v_sub_f32_e32 v2, v13, v11
	v_fma_f32 v143, -0.5, v1, v5
	v_sub_f32_e32 v26, v14, v16
	v_sub_f32_e32 v28, v12, v10
	v_fmamk_f32 v15, v3, 0x3f737871, v142
	v_add_f32_e32 v27, v13, v27
	v_fmamk_f32 v13, v2, 0xbf737871, v143
	v_fmac_f32_e32 v143, 0x3f737871, v2
	v_fmac_f32_e32 v142, 0xbf737871, v3
	v_add_f32_e32 v26, v28, v26
	v_fmac_f32_e32 v15, 0x3f167918, v2
	v_add_f32_e32 v29, v86, v19
	v_fmac_f32_e32 v143, 0xbf167918, v3
	v_fmac_f32_e32 v142, 0xbf167918, v2
	;; [unrolled: 1-line block ×4, first 2 shown]
	v_add_f32_e32 v1, v29, v21
	v_fmac_f32_e32 v143, 0x3e9e377a, v26
	v_add_f32_e32 v2, v11, v27
	v_fmac_f32_e32 v142, 0x3e9e377a, v0
	v_mul_f32_e32 v0, 0xbf167918, v15
	v_fmac_f32_e32 v13, 0x3e9e377a, v26
	v_mul_f32_e32 v26, 0xbf737871, v143
	v_add_f32_e32 v1, v1, v33
	v_add_f32_e32 v2, v9, v2
	v_fmac_f32_e32 v0, 0x3f4f1bbd, v140
	v_mul_f32_e32 v11, 0xbf737871, v13
	v_mul_f32_e32 v27, 0xbf167918, v142
	v_fmac_f32_e32 v26, 0xbe9e377a, v4
	v_mul_i32_i24_e32 v3, 10, v121
	v_add_f32_e32 v28, v1, v2
	v_add_f32_e32 v29, v57, v0
	v_fmac_f32_e32 v11, 0x3e9e377a, v141
	v_fmac_f32_e32 v27, 0xbf4f1bbd, v139
	v_sub_f32_e32 v1, v1, v2
	v_sub_f32_e32 v2, v57, v0
	v_mul_i32_i24_e32 v57, 10, v122
	v_add_f32_e32 v74, v7, v26
	v_sub_f32_e32 v26, v7, v26
	v_lshlrev_b32_e32 v7, 2, v119
	v_lshl_add_u32 v9, v3, 2, v88
	v_sub_f32_e32 v3, v63, v11
	v_add_f32_e32 v73, v63, v11
	v_add_f32_e32 v0, v61, v27
	v_lshl_add_u32 v11, v57, 2, v88
	v_sub_f32_e32 v27, v61, v27
	v_add_nc_u32_e32 v57, v88, v7
	v_add3_u32 v61, 0, v7, v124
	v_lshl_add_u32 v71, v122, 2, v88
	v_lshl_add_u32 v63, v121, 2, v88
	ds_write_b64 v53, v[75:76] offset:32
	ds_write2_b64 v9, v[77:78], v[79:80] offset1:1
	ds_write2_b64 v9, v[81:82], v[83:84] offset0:2 offset1:3
	ds_write_b64 v9, v[30:31] offset:32
	ds_write2_b64 v11, v[28:29], v[73:74] offset1:1
	ds_write2_b64 v11, v[0:1], v[2:3] offset0:2 offset1:3
	ds_write_b64 v11, v[26:27] offset:32
	s_waitcnt lgkmcnt(0)
	s_barrier
	buffer_gl0_inv
	ds_read_b32 v128, v57
	ds_read2_b32 v[75:76], v61 offset0:60 offset1:76
	v_add_nc_u32_e32 v144, 0x400, v61
	ds_read_b32 v126, v71
	ds_read_b32 v127, v63
	ds_read_b32 v129, v61 offset:1808
	ds_read2_b32 v[79:80], v61 offset0:92 offset1:120
	ds_read2_b32 v[85:86], v61 offset0:180 offset1:196
	;; [unrolled: 1-line block ×7, first 2 shown]
	ds_read2_b32 v[30:31], v144 offset1:16
	ds_read2_b32 v[77:78], v144 offset0:120 offset1:136
	v_cmp_gt_u32_e64 s0, 12, v119
	v_lshlrev_b32_e32 v125, 2, v123
                                        ; implicit-def: $vgpr130
                                        ; implicit-def: $vgpr82
	s_and_saveexec_b32 s1, s0
	s_cbranch_execz .LBB0_15
; %bb.14:
	v_add_nc_u32_e32 v0, 0x200, v61
	ds_read2_b32 v[26:27], v0 offset0:100 offset1:160
	v_add3_u32 v0, 0, v125, v124
	ds_read2_b32 v[81:82], v144 offset0:92 offset1:152
	ds_read2_b32 v[1:2], v61 offset0:108 offset1:168
	ds_read_b32 v0, v0
	ds_read_b32 v130, v61 offset:1872
	s_waitcnt lgkmcnt(4)
	v_mov_b32_e32 v3, v26
	v_mov_b32_e32 v26, v27
	s_waitcnt lgkmcnt(3)
	v_mov_b32_e32 v27, v81
.LBB0_15:
	s_or_b32 exec_lo, exec_lo, s1
	v_add_f32_e32 v81, v66, v68
	v_add_f32_e32 v146, v60, v70
	;; [unrolled: 1-line block ×3, first 2 shown]
	v_sub_f32_e32 v59, v59, v69
	v_sub_f32_e32 v69, v60, v66
	v_fma_f32 v81, -0.5, v81, v40
	v_sub_f32_e32 v145, v70, v68
	v_sub_f32_e32 v65, v65, v67
	v_fmac_f32_e32 v40, -0.5, v146
	v_add_f32_e32 v7, v7, v66
	v_fmamk_f32 v67, v59, 0x3f737871, v81
	v_add_f32_e32 v69, v69, v145
	v_add_f32_e32 v56, v56, v64
	v_fmamk_f32 v145, v65, 0xbf737871, v40
	v_sub_f32_e32 v60, v66, v60
	v_sub_f32_e32 v64, v68, v70
	v_fmac_f32_e32 v40, 0x3f737871, v65
	v_add_f32_e32 v7, v7, v68
	v_fmac_f32_e32 v67, 0x3f167918, v65
	v_add_f32_e32 v56, v56, v62
	;; [unrolled: 2-line block ×3, first 2 shown]
	v_fmac_f32_e32 v40, 0xbf167918, v59
	v_mul_f32_e32 v23, 0x3f167918, v23
	v_add_f32_e32 v64, v48, v50
	v_add_f32_e32 v7, v7, v70
	v_fmac_f32_e32 v67, 0x3e9e377a, v69
	v_add_f32_e32 v56, v56, v72
	v_fmac_f32_e32 v145, 0x3e9e377a, v60
	v_fmac_f32_e32 v40, 0x3e9e377a, v60
	;; [unrolled: 1-line block ×3, first 2 shown]
	v_mul_f32_e32 v60, 0x3f4f1bbd, v132
	v_fma_f32 v70, -0.5, v64, v32
	v_sub_f32_e32 v51, v41, v51
	v_add_f32_e32 v36, v36, v46
	v_fmac_f32_e32 v81, 0xbf737871, v59
	v_add_f32_e32 v62, v58, v56
	v_add_f32_e32 v59, v67, v23
	v_fma_f32 v6, 0x3f167918, v6, -v60
	v_add_f32_e32 v60, v32, v42
	v_sub_f32_e32 v66, v67, v23
	v_fmamk_f32 v23, v51, 0x3f737871, v70
	v_sub_f32_e32 v47, v47, v49
	v_sub_f32_e32 v41, v42, v48
	;; [unrolled: 1-line block ×3, first 2 shown]
	v_add_f32_e32 v36, v36, v54
	v_fmac_f32_e32 v81, 0xbf167918, v65
	v_add_f32_e32 v58, v7, v62
	v_sub_f32_e32 v65, v7, v62
	v_add_f32_e32 v7, v60, v48
	v_add_f32_e32 v60, v42, v52
	v_fmac_f32_e32 v23, 0x3f167918, v47
	v_add_f32_e32 v49, v41, v49
	v_fmac_f32_e32 v70, 0xbf737871, v51
	v_add_f32_e32 v36, v44, v36
	v_mul_f32_e32 v44, 0x3f167918, v136
	v_fmac_f32_e32 v81, 0x3e9e377a, v69
	v_add_f32_e32 v7, v7, v50
	v_fmac_f32_e32 v32, -0.5, v60
	v_fmac_f32_e32 v23, 0x3e9e377a, v49
	v_sub_f32_e32 v42, v48, v42
	v_sub_f32_e32 v46, v50, v52
	v_fmac_f32_e32 v70, 0xbf167918, v47
	v_fmac_f32_e32 v44, 0x3f4f1bbd, v37
	v_add_f32_e32 v64, v81, v6
	v_sub_f32_e32 v41, v81, v6
	v_add_f32_e32 v6, v7, v52
	v_fmamk_f32 v7, v47, 0xbf737871, v32
	v_fmac_f32_e32 v32, 0x3f737871, v47
	v_add_f32_e32 v42, v42, v46
	v_fmac_f32_e32 v70, 0x3e9e377a, v49
	v_add_f32_e32 v46, v38, v36
	v_add_f32_e32 v37, v23, v44
	;; [unrolled: 1-line block ×4, first 2 shown]
	v_sub_f32_e32 v44, v23, v44
	v_add_f32_e32 v23, v18, v34
	v_fmac_f32_e32 v7, 0x3f167918, v51
	v_fmac_f32_e32 v32, 0xbf167918, v51
	v_mul_f32_e32 v45, 0x3e9e377a, v45
	v_mul_f32_e32 v38, 0x3e9e377a, v43
	v_add_f32_e32 v36, v6, v46
	v_sub_f32_e32 v43, v6, v46
	v_add_f32_e32 v6, v48, v20
	v_fma_f32 v48, -0.5, v49, v8
	v_sub_f32_e32 v19, v19, v21
	v_fmac_f32_e32 v8, -0.5, v23
	v_fmac_f32_e32 v7, 0x3e9e377a, v42
	v_fmac_f32_e32 v32, 0x3e9e377a, v42
	v_mul_f32_e32 v42, 0x3f4f1bbd, v138
	v_fmac_f32_e32 v45, 0x3f737871, v137
	v_fma_f32 v35, 0x3f737871, v35, -v38
	v_sub_f32_e32 v17, v17, v33
	v_sub_f32_e32 v21, v18, v20
	v_fmamk_f32 v23, v19, 0xbf737871, v8
	v_sub_f32_e32 v18, v20, v18
	v_sub_f32_e32 v20, v22, v34
	v_fmac_f32_e32 v8, 0x3f737871, v19
	v_add_f32_e32 v5, v5, v16
	v_mul_f32_e32 v68, 0x3e9e377a, v135
	v_mul_f32_e32 v56, 0x3e9e377a, v134
	v_fma_f32 v47, 0x3f167918, v39, -v42
	v_add_f32_e32 v38, v7, v45
	v_add_f32_e32 v39, v32, v35
	v_sub_f32_e32 v45, v7, v45
	v_sub_f32_e32 v46, v32, v35
	v_fmamk_f32 v7, v17, 0x3f737871, v48
	v_sub_f32_e32 v32, v34, v22
	v_fmac_f32_e32 v48, 0xbf737871, v17
	v_fmac_f32_e32 v23, 0x3f167918, v17
	v_add_f32_e32 v16, v18, v20
	v_fmac_f32_e32 v8, 0xbf167918, v17
	v_add_f32_e32 v5, v14, v5
	v_fmac_f32_e32 v68, 0x3f737871, v131
	v_fma_f32 v69, 0x3f737871, v55, -v56
	v_add_f32_e32 v6, v6, v22
	v_fmac_f32_e32 v7, 0x3f167918, v19
	v_add_f32_e32 v21, v21, v32
	v_fmac_f32_e32 v48, 0xbf167918, v19
	v_fmac_f32_e32 v23, 0x3e9e377a, v16
	;; [unrolled: 1-line block ×3, first 2 shown]
	v_add_f32_e32 v5, v12, v5
	v_mul_f32_e32 v16, 0x3f4f1bbd, v15
	v_mul_f32_e32 v17, 0x3f737871, v141
	;; [unrolled: 1-line block ×4, first 2 shown]
	v_add_f32_e32 v55, v145, v68
	v_add_f32_e32 v56, v40, v69
	;; [unrolled: 1-line block ×3, first 2 shown]
	v_fmac_f32_e32 v7, 0x3e9e377a, v21
	v_fmac_f32_e32 v48, 0x3e9e377a, v21
	v_add_f32_e32 v5, v10, v5
	v_fmac_f32_e32 v16, 0x3f167918, v140
	v_fmac_f32_e32 v17, 0x3e9e377a, v13
	v_fma_f32 v10, 0x3f737871, v4, -v12
	v_fma_f32 v18, 0x3f167918, v139, -v14
	v_sub_f32_e32 v67, v145, v68
	v_sub_f32_e32 v40, v40, v69
	v_add_f32_e32 v42, v70, v47
	v_sub_f32_e32 v47, v70, v47
	v_add_f32_e32 v12, v6, v5
	v_add_f32_e32 v13, v7, v16
	;; [unrolled: 1-line block ×5, first 2 shown]
	v_sub_f32_e32 v5, v6, v5
	v_sub_f32_e32 v6, v7, v16
	;; [unrolled: 1-line block ×5, first 2 shown]
	s_waitcnt lgkmcnt(0)
	s_barrier
	buffer_gl0_inv
	ds_write2_b64 v53, v[58:59], v[55:56] offset1:1
	ds_write2_b64 v53, v[64:65], v[66:67] offset0:2 offset1:3
	ds_write_b64 v53, v[40:41] offset:32
	ds_write2_b64 v9, v[36:37], v[38:39] offset1:1
	ds_write2_b64 v9, v[42:43], v[44:45] offset0:2 offset1:3
	ds_write_b64 v9, v[46:47] offset:32
	;; [unrolled: 3-line block ×3, first 2 shown]
	s_waitcnt lgkmcnt(0)
	s_barrier
	buffer_gl0_inv
	ds_read_b32 v56, v57
	ds_read2_b32 v[52:53], v61 offset0:60 offset1:76
	ds_read2_b32 v[40:41], v61 offset0:92 offset1:120
	ds_read2_b32 v[46:47], v61 offset0:180 offset1:196
	ds_read2_b32 v[36:37], v61 offset0:212 offset1:240
	ds_read2_b32 v[54:55], v144 offset0:44 offset1:60
	ds_read2_b32 v[38:39], v144 offset0:76 offset1:104
	ds_read2_b32 v[48:49], v144 offset0:164 offset1:180
	ds_read2_b32 v[44:45], v61 offset0:136 offset1:152
	ds_read2_b32 v[34:35], v144 offset1:16
	ds_read2_b32 v[42:43], v144 offset0:120 offset1:136
	ds_read_b32 v58, v71
	ds_read_b32 v59, v63
	ds_read_b32 v62, v61 offset:1808
                                        ; implicit-def: $vgpr51
                                        ; implicit-def: $vgpr64
	s_and_saveexec_b32 s1, s0
	s_cbranch_execz .LBB0_17
; %bb.16:
	v_add_nc_u32_e32 v4, 0x200, v61
	v_add_nc_u32_e32 v5, 0x400, v61
	ds_read2_b32 v[7:8], v4 offset0:100 offset1:160
	v_add3_u32 v4, 0, v125, v124
	ds_read2_b32 v[50:51], v5 offset0:92 offset1:152
	ds_read2_b32 v[5:6], v61 offset0:108 offset1:168
	ds_read_b32 v4, v4
	ds_read_b32 v64, v61 offset:1872
	s_waitcnt lgkmcnt(4)
	v_mov_b32_e32 v32, v8
	s_waitcnt lgkmcnt(3)
	v_mov_b32_e32 v33, v50
.LBB0_17:
	s_or_b32 exec_lo, exec_lo, s1
	v_add_nc_u32_e32 v8, -10, v119
	v_cmp_gt_u32_e64 s1, 10, v119
	v_and_b32_e32 v10, 0xff, v121
	v_mov_b32_e32 v9, 0
	v_cndmask_b32_e64 v65, v8, v119, s1
	v_mul_lo_u16 v10, 0xcd, v10
	v_mul_i32_i24_e32 v8, 7, v65
	v_lshrrev_b16 v66, 11, v10
	v_and_b32_e32 v10, 0xff, v122
	v_lshlrev_b64 v[8:9], 3, v[8:9]
	v_mul_lo_u16 v11, v66, 10
	v_mul_lo_u16 v10, 0xcd, v10
	;; [unrolled: 1-line block ×3, first 2 shown]
	v_sub_nc_u16 v67, v121, v11
	v_add_co_u32 v8, s1, s8, v8
	v_add_co_ci_u32_e64 v9, s1, s9, v9, s1
	v_lshrrev_b16 v72, 11, v10
	v_mul_lo_u16 v10, v67, 7
	v_cmp_lt_u32_e64 s1, 9, v119
	s_clause 0x3
	global_load_dwordx4 v[131:134], v[8:9], off
	global_load_dwordx4 v[12:15], v[8:9], off offset:16
	global_load_dwordx4 v[135:138], v[8:9], off offset:32
	global_load_dwordx2 v[69:70], v[8:9], off offset:48
	v_and_b32_e32 v9, 0xff, v123
	v_mov_b32_e32 v8, 3
	v_mul_lo_u16 v11, v72, 10
	v_cndmask_b32_e64 v169, 0, 0x50, s1
	v_or_b32_e32 v67, v66, v67
	v_mul_lo_u16 v9, 0xcd, v9
	v_lshlrev_b32_sdwa v8, v8, v10 dst_sel:DWORD dst_unused:UNUSED_PAD src0_sel:DWORD src1_sel:BYTE_0
	v_mov_b32_e32 v10, 7
	v_sub_nc_u16 v81, v122, v11
	v_or_b32_e32 v65, v169, v65
	v_lshrrev_b16 v50, 11, v9
	s_clause 0x1
	global_load_dwordx4 v[139:142], v8, s[8:9]
	global_load_dwordx4 v[16:19], v8, s[8:9] offset:16
	v_mul_u32_u24_sdwa v9, v81, v10 dst_sel:DWORD dst_unused:UNUSED_PAD src0_sel:BYTE_0 src1_sel:DWORD
	global_load_dwordx4 v[143:146], v8, s[8:9] offset:32
	v_mul_lo_u16 v11, v50, 10
	v_mov_b32_e32 v169, 2
	v_lshlrev_b32_e32 v65, 2, v65
	v_lshlrev_b32_e32 v9, 3, v9
	s_clause 0x1
	global_load_dwordx2 v[163:164], v8, s[8:9] offset:48
	global_load_dwordx4 v[147:150], v9, s[8:9]
	v_sub_nc_u16 v60, v123, v11
	s_clause 0x1
	global_load_dwordx4 v[20:23], v9, s[8:9] offset:16
	global_load_dwordx4 v[151:154], v9, s[8:9] offset:32
	v_add3_u32 v66, 0, v65, v124
	v_lshlrev_b32_sdwa v65, v169, v67 dst_sel:DWORD dst_unused:UNUSED_PAD src0_sel:DWORD src1_sel:BYTE_0
	v_mul_u32_u24_sdwa v8, v60, v10 dst_sel:DWORD dst_unused:UNUSED_PAD src0_sel:BYTE_0 src1_sel:DWORD
	v_add3_u32 v67, 0, v65, v124
	v_lshlrev_b32_e32 v68, 3, v8
	s_clause 0x4
	global_load_dwordx2 v[165:166], v9, s[8:9] offset:48
	global_load_dwordx4 v[155:158], v68, s[8:9]
	global_load_dwordx4 v[8:11], v68, s[8:9] offset:16
	global_load_dwordx4 v[159:162], v68, s[8:9] offset:32
	global_load_dwordx2 v[167:168], v68, s[8:9] offset:48
	v_mov_b32_e32 v68, 0x50
	s_waitcnt vmcnt(0) lgkmcnt(0)
	s_barrier
	buffer_gl0_inv
	v_mul_u32_u24_sdwa v72, v72, v68 dst_sel:DWORD dst_unused:UNUSED_PAD src0_sel:WORD_0 src1_sel:DWORD
	v_or_b32_sdwa v72, v72, v81 dst_sel:DWORD dst_unused:UNUSED_PAD src0_sel:DWORD src1_sel:BYTE_0
	v_lshlrev_b32_e32 v72, 2, v72
	v_add3_u32 v65, 0, v72, v124
	v_mul_f32_e32 v72, v52, v132
	v_mul_f32_e32 v81, v75, v132
	;; [unrolled: 1-line block ×13, first 2 shown]
	v_fmac_f32_e32 v72, v75, v131
	v_fma_f32 v52, v52, v131, -v81
	v_fmac_f32_e32 v132, v80, v133
	v_fma_f32 v13, v41, v133, -v134
	;; [unrolled: 2-line block ×3, first 2 shown]
	v_fmac_f32_e32 v171, v29, v14
	v_fmac_f32_e32 v172, v89, v135
	v_fma_f32 v46, v54, v135, -v136
	v_fmac_f32_e32 v173, v74, v137
	v_fma_f32 v39, v39, v137, -v138
	;; [unrolled: 2-line block ×3, first 2 shown]
	v_mul_f32_e32 v69, v53, v140
	v_mul_f32_e32 v70, v76, v140
	;; [unrolled: 1-line block ×38, first 2 shown]
	v_sub_f32_e32 v171, v128, v171
	v_sub_f32_e32 v12, v132, v173
	;; [unrolled: 1-line block ×7, first 2 shown]
	v_fmac_f32_e32 v69, v76, v139
	v_fma_f32 v53, v53, v139, -v70
	v_fmac_f32_e32 v74, v83, v141
	v_fma_f32 v17, v44, v141, -v75
	;; [unrolled: 2-line block ×5, first 2 shown]
	v_fmac_f32_e32 v134, v88, v163
	v_fmac_f32_e32 v85, v30, v18
	v_fma_f32 v49, v49, v163, -v135
	v_fmac_f32_e32 v136, v79, v147
	v_fma_f32 v55, v40, v147, -v137
	;; [unrolled: 2-line block ×4, first 2 shown]
	v_fmac_f32_e32 v146, v31, v22
	v_fmac_f32_e32 v148, v73, v151
	v_fmac_f32_e32 v152, v78, v153
	v_fma_f32 v40, v43, v153, -v154
	v_fmac_f32_e32 v164, v129, v165
	v_fma_f32 v43, v62, v165, -v166
	v_fma_f32 v36, v38, v151, -v150
	v_fmac_f32_e32 v170, v1, v155
	v_fma_f32 v45, v5, v155, -v156
	;; [unrolled: 3-line block ×3, first 2 shown]
	v_fmac_f32_e32 v177, v27, v159
	v_fma_f32 v5, v33, v159, -v160
	v_fma_f32 v6, v51, v161, -v162
	v_fmac_f32_e32 v179, v130, v167
	v_fma_f32 v7, v64, v167, -v168
	v_fma_f32 v27, v128, 2.0, -v171
	v_fma_f32 v8, v132, 2.0, -v12
	;; [unrolled: 1-line block ×6, first 2 shown]
	v_add_f32_e32 v70, v171, v21
	v_add_f32_e32 v52, v172, v54
	v_sub_f32_e32 v73, v127, v85
	v_sub_f32_e32 v3, v74, v131
	;; [unrolled: 1-line block ×7, first 2 shown]
	v_fmac_f32_e32 v48, v2, v157
	v_sub_f32_e32 v76, v126, v146
	v_sub_f32_e32 v1, v138, v152
	v_sub_f32_e32 v2, v9, v40
	v_sub_f32_e32 v77, v136, v148
	v_sub_f32_e32 v78, v142, v164
	v_sub_f32_e32 v43, v20, v43
	v_fmac_f32_e32 v178, v82, v161
	v_sub_f32_e32 v72, v46, v39
	v_sub_f32_e32 v36, v55, v36
	;; [unrolled: 1-line block ×8, first 2 shown]
	v_fma_f32 v85, v171, 2.0, -v70
	v_sub_f32_e32 v6, v33, v51
	v_sub_f32_e32 v64, v28, v41
	v_fma_f32 v51, v172, 2.0, -v52
	v_fmamk_f32 v86, v52, 0x3f3504f3, v70
	v_fma_f32 v87, v127, 2.0, -v73
	v_fma_f32 v88, v74, 2.0, -v3
	v_fma_f32 v69, v69, 2.0, -v42
	v_fma_f32 v54, v53, 2.0, -v44
	v_fma_f32 v53, v80, 2.0, -v75
	v_fma_f32 v47, v47, 2.0, -v49
	v_add_f32_e32 v80, v73, v16
	v_add_f32_e32 v89, v42, v49
	v_fma_f32 v90, v126, 2.0, -v76
	v_fma_f32 v126, v138, 2.0, -v1
	;; [unrolled: 1-line block ×5, first 2 shown]
	v_add_f32_e32 v130, v76, v2
	v_add_f32_e32 v43, v77, v43
	v_fma_f32 v46, v46, 2.0, -v72
	v_mul_f32_e32 v8, 0x3f3504f3, v72
	v_sub_f32_e32 v75, v44, v75
	v_fma_f32 v5, v55, 2.0, -v36
	v_fma_f32 v74, v170, 2.0, -v79
	;; [unrolled: 1-line block ×5, first 2 shown]
	v_add_f32_e32 v83, v79, v83
	v_sub_f32_e32 v82, v81, v82
	v_fma_f32 v131, v27, 2.0, -v84
	v_fma_f32 v132, v33, 2.0, -v6
	v_fmamk_f32 v133, v51, 0xbf3504f3, v85
	v_add_f32_e32 v134, v84, v64
	v_fmac_f32_e32 v86, 0x3f3504f3, v72
	v_sub_f32_e32 v88, v87, v88
	v_fma_f32 v135, v73, 2.0, -v80
	v_sub_f32_e32 v33, v69, v53
	v_sub_f32_e32 v72, v54, v47
	v_fma_f32 v47, v42, 2.0, -v89
	v_sub_f32_e32 v78, v36, v78
	v_mul_f32_e32 v49, 0x3f3504f3, v89
	v_fmamk_f32 v89, v89, 0x3f3504f3, v80
	v_sub_f32_e32 v126, v90, v126
	v_fma_f32 v76, v76, 2.0, -v130
	v_sub_f32_e32 v20, v127, v128
	v_fma_f32 v77, v77, 2.0, -v43
	v_mul_f32_e32 v7, 0x3f3504f3, v52
	v_mul_f32_e32 v52, 0x3f3504f3, v51
	v_fma_f32 v136, v44, 2.0, -v75
	v_sub_f32_e32 v51, v5, v129
	v_mul_f32_e32 v27, 0x3f3504f3, v43
	v_fmamk_f32 v129, v43, 0x3f3504f3, v130
	v_sub_f32_e32 v42, v74, v45
	v_fma_f32 v79, v79, 2.0, -v83
	v_fma_f32 v81, v81, 2.0, -v82
	v_mul_f32_e32 v43, 0x3f3504f3, v83
	v_mul_f32_e32 v45, 0x3f3504f3, v82
	v_sub_f32_e32 v82, v131, v132
	v_fmac_f32_e32 v133, 0x3f3504f3, v46
	v_fma_f32 v83, v84, 2.0, -v134
	v_fma_f32 v84, v70, 2.0, -v86
	ds_write2_b32 v66, v134, v86 offset0:60 offset1:70
	v_fma_f32 v86, v87, 2.0, -v88
	v_fma_f32 v87, v69, 2.0, -v33
	v_fmamk_f32 v132, v47, 0xbf3504f3, v135
	v_mul_f32_e32 v53, 0x3f3504f3, v75
	v_fma_f32 v128, v36, 2.0, -v78
	v_sub_f32_e32 v44, v41, v62
	v_fmac_f32_e32 v89, 0x3f3504f3, v75
	v_fma_f32 v75, v90, 2.0, -v126
	v_fma_f32 v90, v127, 2.0, -v20
	v_mul_f32_e32 v62, 0x3f3504f3, v77
	v_fmamk_f32 v77, v77, 0xbf3504f3, v76
	v_add_f32_e32 v134, v88, v72
	v_mul_f32_e32 v55, 0x3f3504f3, v46
	v_mul_f32_e32 v36, 0x3f3504f3, v78
	;; [unrolled: 1-line block ×3, first 2 shown]
	v_fmac_f32_e32 v129, 0x3f3504f3, v78
	v_mul_f32_e32 v46, 0x3f3504f3, v79
	v_mul_f32_e32 v47, 0x3f3504f3, v81
	v_fma_f32 v78, v131, 2.0, -v82
	v_fma_f32 v79, v85, 2.0, -v133
	v_sub_f32_e32 v81, v86, v87
	v_fmac_f32_e32 v132, 0x3f3504f3, v136
	ds_write2_b32 v66, v83, v84 offset0:20 offset1:30
	ds_write2_b32 v66, v82, v133 offset0:40 offset1:50
	v_sub_f32_e32 v83, v75, v90
	v_fmac_f32_e32 v77, 0x3f3504f3, v128
	v_sub_f32_e32 v39, v48, v178
	v_mul_f32_e32 v73, 0x3f3504f3, v136
	v_mul_f32_e32 v69, 0x3f3504f3, v128
	v_add_f32_e32 v127, v126, v51
	v_fma_f32 v82, v88, 2.0, -v134
	v_fma_f32 v80, v80, 2.0, -v89
	ds_write2_b32 v66, v78, v79 offset1:10
	v_fma_f32 v78, v86, 2.0, -v81
	v_fma_f32 v79, v135, 2.0, -v132
	;; [unrolled: 1-line block ×6, first 2 shown]
	ds_write2_b32 v67, v134, v89 offset0:60 offset1:70
	ds_write2_b32 v67, v82, v80 offset0:20 offset1:30
	;; [unrolled: 1-line block ×3, first 2 shown]
	ds_write2_b32 v67, v78, v79 offset1:10
	ds_write2_b32 v65, v75, v76 offset1:10
	ds_write2_b32 v65, v84, v85 offset0:20 offset1:30
	ds_write2_b32 v65, v83, v77 offset0:40 offset1:50
	ds_write2_b32 v65, v127, v129 offset0:60 offset1:70
	s_and_saveexec_b32 s1, s0
	s_cbranch_execz .LBB0_19
; %bb.18:
	v_mul_f32_e32 v75, v32, v11
	v_fma_f32 v48, v48, 2.0, -v39
	v_mul_u32_u24_sdwa v68, v50, v68 dst_sel:DWORD dst_unused:UNUSED_PAD src0_sel:WORD_0 src1_sel:DWORD
	v_fma_f32 v74, v74, 2.0, -v42
	v_fmac_f32_e32 v75, v26, v10
	v_or_b32_sdwa v68, v68, v60 dst_sel:DWORD dst_unused:UNUSED_PAD src0_sel:DWORD src1_sel:BYTE_0
	v_sub_f32_e32 v75, v0, v75
	v_lshlrev_b32_e32 v68, 2, v68
	v_add_f32_e32 v76, v75, v40
	v_fma_f32 v0, v0, 2.0, -v75
	v_add3_u32 v68, 0, v68, v124
	v_fma_f32 v75, v75, 2.0, -v76
	v_sub_f32_e32 v48, v0, v48
	v_add_f32_e32 v77, v76, v43
	v_sub_f32_e32 v78, v75, v46
	v_fma_f32 v0, v0, 2.0, -v48
	v_add_f32_e32 v77, v45, v77
	v_add_f32_e32 v79, v48, v44
	;; [unrolled: 1-line block ×3, first 2 shown]
	v_sub_f32_e32 v74, v0, v74
	v_fma_f32 v76, v76, 2.0, -v77
	v_fma_f32 v48, v48, 2.0, -v79
	;; [unrolled: 1-line block ×4, first 2 shown]
	ds_write2_b32 v68, v48, v76 offset0:20 offset1:30
	ds_write2_b32 v68, v74, v78 offset0:40 offset1:50
	ds_write2_b32 v68, v0, v75 offset1:10
	ds_write2_b32 v68, v79, v77 offset0:60 offset1:70
.LBB0_19:
	s_or_b32 exec_lo, exec_lo, s1
	v_mul_f32_e32 v0, v29, v15
	v_mul_f32_e32 v15, v30, v19
	;; [unrolled: 1-line block ×3, first 2 shown]
	v_fma_f32 v13, v13, 2.0, -v21
	v_fma_f32 v16, v17, 2.0, -v16
	v_fma_f32 v0, v37, v14, -v0
	v_fma_f32 v14, v34, v18, -v15
	;; [unrolled: 1-line block ×3, first 2 shown]
	v_fma_f32 v17, v54, 2.0, -v72
	v_fma_f32 v15, v28, 2.0, -v64
	v_sub_f32_e32 v0, v56, v0
	v_sub_f32_e32 v14, v59, v14
	;; [unrolled: 1-line block ×3, first 2 shown]
	s_waitcnt lgkmcnt(0)
	s_barrier
	v_sub_f32_e32 v12, v0, v12
	v_fma_f32 v19, v56, 2.0, -v0
	v_fma_f32 v21, v59, 2.0, -v14
	v_sub_f32_e32 v3, v14, v3
	v_fma_f32 v22, v58, 2.0, -v18
	v_fma_f32 v0, v0, 2.0, -v12
	v_sub_f32_e32 v13, v19, v13
	v_add_f32_e32 v8, v12, v8
	v_sub_f32_e32 v16, v21, v16
	v_fma_f32 v14, v14, 2.0, -v3
	v_sub_f32_e32 v23, v0, v55
	v_sub_f32_e32 v72, v18, v1
	v_fma_f32 v19, v19, 2.0, -v13
	v_sub_f32_e32 v48, v13, v6
	v_sub_f32_e32 v54, v8, v7
	;; [unrolled: 1-line block ×3, first 2 shown]
	v_fma_f32 v6, v21, 2.0, -v16
	v_sub_f32_e32 v7, v14, v73
	v_add_f32_e32 v1, v3, v53
	v_fma_f32 v75, v18, 2.0, -v72
	v_fma_f32 v68, v0, 2.0, -v52
	;; [unrolled: 1-line block ×3, first 2 shown]
	v_sub_f32_e32 v55, v19, v15
	v_sub_f32_e32 v59, v6, v17
	;; [unrolled: 1-line block ×5, first 2 shown]
	v_fma_f32 v0, v5, 2.0, -v51
	v_sub_f32_e32 v1, v75, v69
	v_add_f32_e32 v2, v72, v36
	v_sub_f32_e32 v76, v16, v33
	v_fma_f32 v77, v22, 2.0, -v53
	v_sub_f32_e32 v79, v53, v20
	v_add_nc_u32_e32 v20, 0x400, v61
	v_fma_f32 v56, v13, 2.0, -v48
	v_fma_f32 v58, v12, 2.0, -v54
	;; [unrolled: 1-line block ×6, first 2 shown]
	v_sub_f32_e32 v78, v77, v0
	v_sub_f32_e32 v62, v1, v62
	;; [unrolled: 1-line block ×3, first 2 shown]
	buffer_gl0_inv
	ds_read2_b32 v[18:19], v61 offset0:64 offset1:80
	ds_read2_b32 v[0:1], v61 offset0:160 offset1:176
	;; [unrolled: 1-line block ×6, first 2 shown]
	ds_read2_b32 v[7:8], v20 offset1:16
	ds_read2_b32 v[12:13], v20 offset0:160 offset1:176
	ds_read2_b32 v[14:15], v61 offset0:192 offset1:208
	v_add3_u32 v37, 0, v125, v124
	v_fma_f32 v51, v16, 2.0, -v76
	ds_read2_b32 v[16:17], v20 offset0:96 offset1:112
	ds_read_b32 v31, v57
	ds_read_b32 v9, v63
	;; [unrolled: 1-line block ×4, first 2 shown]
	ds_read2_b32 v[22:23], v61 offset0:128 offset1:144
	ds_read2_b32 v[27:28], v20 offset0:32 offset1:48
	;; [unrolled: 1-line block ×3, first 2 shown]
	v_fma_f32 v77, v77, 2.0, -v78
	v_fma_f32 v75, v75, 2.0, -v62
	;; [unrolled: 1-line block ×4, first 2 shown]
	s_waitcnt lgkmcnt(0)
	s_barrier
	buffer_gl0_inv
	ds_write2_b32 v66, v64, v68 offset1:10
	ds_write2_b32 v66, v56, v58 offset0:20 offset1:30
	ds_write2_b32 v66, v55, v52 offset0:40 offset1:50
	ds_write2_b32 v66, v48, v54 offset0:60 offset1:70
	ds_write2_b32 v67, v73, v74 offset1:10
	ds_write2_b32 v67, v51, v69 offset0:20 offset1:30
	ds_write2_b32 v67, v59, v70 offset0:40 offset1:50
	ds_write2_b32 v67, v76, v49 offset0:60 offset1:70
	ds_write2_b32 v65, v77, v75 offset1:10
	ds_write2_b32 v65, v53, v72 offset0:20 offset1:30
	ds_write2_b32 v65, v78, v62 offset0:40 offset1:50
	ds_write2_b32 v65, v79, v80 offset0:60 offset1:70
	s_and_saveexec_b32 s1, s0
	s_cbranch_execz .LBB0_21
; %bb.20:
	v_mul_f32_e32 v11, v26, v11
	v_fma_f32 v26, v38, 2.0, -v40
	v_fma_f32 v38, v41, 2.0, -v44
	v_fma_f32 v10, v32, v10, -v11
	v_mov_b32_e32 v11, 0x50
	v_sub_f32_e32 v10, v4, v10
	v_mul_u32_u24_sdwa v11, v50, v11 dst_sel:DWORD dst_unused:UNUSED_PAD src0_sel:WORD_0 src1_sel:DWORD
	v_fma_f32 v4, v4, 2.0, -v10
	v_sub_f32_e32 v32, v10, v39
	v_or_b32_sdwa v11, v11, v60 dst_sel:DWORD dst_unused:UNUSED_PAD src0_sel:DWORD src1_sel:BYTE_0
	v_sub_f32_e32 v26, v4, v26
	v_fma_f32 v10, v10, 2.0, -v32
	v_add_f32_e32 v39, v32, v45
	v_lshlrev_b32_e32 v11, 2, v11
	v_fma_f32 v4, v4, 2.0, -v26
	v_sub_f32_e32 v40, v10, v47
	v_sub_f32_e32 v41, v26, v42
	;; [unrolled: 1-line block ×3, first 2 shown]
	v_add3_u32 v11, 0, v11, v124
	v_sub_f32_e32 v38, v4, v38
	v_sub_f32_e32 v40, v40, v46
	v_fma_f32 v26, v26, 2.0, -v41
	v_fma_f32 v32, v32, 2.0, -v39
	;; [unrolled: 1-line block ×4, first 2 shown]
	ds_write2_b32 v11, v26, v32 offset0:20 offset1:30
	ds_write2_b32 v11, v38, v40 offset0:40 offset1:50
	ds_write2_b32 v11, v4, v10 offset1:10
	ds_write2_b32 v11, v41, v39 offset0:60 offset1:70
.LBB0_21:
	s_or_b32 exec_lo, exec_lo, s1
	s_waitcnt lgkmcnt(0)
	s_barrier
	buffer_gl0_inv
	s_and_saveexec_b32 s0, vcc_lo
	s_cbranch_execz .LBB0_23
; %bb.22:
	v_mul_i32_i24_e32 v58, 5, v123
	v_mov_b32_e32 v59, 0
	v_mul_u32_u24_e32 v4, 5, v96
	v_mul_u32_u24_e32 v10, 5, v119
	v_lshlrev_b64 v[64:65], 3, v[58:59]
	v_mul_i32_i24_e32 v58, 5, v122
	v_lshlrev_b32_e32 v4, 3, v4
	v_lshlrev_b32_e32 v26, 3, v10
	s_clause 0x1
	global_load_dwordx4 v[38:41], v4, s[8:9] offset:560
	global_load_dwordx4 v[42:45], v4, s[8:9] offset:576
	v_lshlrev_b64 v[76:77], 3, v[58:59]
	v_mul_i32_i24_e32 v58, 5, v121
	v_add_co_u32 v68, vcc_lo, s8, v64
	s_clause 0x3
	global_load_dwordx2 v[10:11], v4, s[8:9] offset:592
	global_load_dwordx4 v[46:49], v26, s[8:9] offset:560
	global_load_dwordx4 v[50:53], v26, s[8:9] offset:576
	global_load_dwordx2 v[54:55], v26, s[8:9] offset:592
	v_add_co_ci_u32_e32 v69, vcc_lo, s9, v65, vcc_lo
	v_lshlrev_b64 v[58:59], 3, v[58:59]
	v_add_co_u32 v84, vcc_lo, s8, v76
	s_clause 0x2
	global_load_dwordx4 v[64:67], v[68:69], off offset:560
	global_load_dwordx4 v[72:75], v[68:69], off offset:576
	global_load_dwordx2 v[68:69], v[68:69], off offset:592
	v_add_co_ci_u32_e32 v85, vcc_lo, s9, v77, vcc_lo
	v_add_co_u32 v58, vcc_lo, s8, v58
	s_clause 0x2
	global_load_dwordx4 v[76:79], v[84:85], off offset:560
	global_load_dwordx4 v[80:83], v[84:85], off offset:576
	global_load_dwordx2 v[88:89], v[84:85], off offset:592
	v_add_co_ci_u32_e32 v59, vcc_lo, s9, v59, vcc_lo
	s_clause 0x2
	global_load_dwordx4 v[84:87], v[58:59], off offset:560
	global_load_dwordx4 v[121:124], v[58:59], off offset:576
	global_load_dwordx2 v[58:59], v[58:59], off offset:592
	v_add_nc_u32_e32 v4, 0x400, v61
	ds_read2_b32 v[125:126], v61 offset0:64 offset1:80
	ds_read2_b32 v[127:128], v61 offset0:224 offset1:240
	;; [unrolled: 1-line block ×10, first 2 shown]
	ds_read_b32 v26, v37
	ds_read_b32 v32, v71
	;; [unrolled: 1-line block ×4, first 2 shown]
	ds_read2_b32 v[62:63], v4 offset0:96 offset1:112
	ds_read2_b32 v[70:71], v4 offset1:16
	ds_read2_b32 v[143:144], v4 offset0:160 offset1:176
	v_mad_u64_u32 v[56:57], null, s2, v119, 0
	s_waitcnt vmcnt(14)
	v_mul_f32_e32 v4, v29, v41
	s_waitcnt vmcnt(13)
	v_mul_f32_e32 v145, v33, v45
	s_waitcnt lgkmcnt(15)
	v_mul_f32_e32 v41, v127, v41
	s_waitcnt lgkmcnt(14)
	;; [unrolled: 2-line block ×4, first 2 shown]
	v_mul_f32_e32 v147, v43, v134
	s_waitcnt vmcnt(12) lgkmcnt(11)
	v_mul_f32_e32 v148, v11, v136
	v_mul_f32_e32 v43, v28, v43
	;; [unrolled: 1-line block ×4, first 2 shown]
	s_waitcnt vmcnt(11)
	v_mul_f32_e32 v149, v0, v49
	s_waitcnt vmcnt(10)
	v_mul_f32_e32 v150, v2, v53
	s_waitcnt lgkmcnt(8)
	v_mul_f32_e32 v151, v60, v49
	s_waitcnt lgkmcnt(7)
	v_mul_f32_e32 v152, v141, v53
	v_mul_f32_e32 v153, v19, v46
	;; [unrolled: 1-line block ×3, first 2 shown]
	s_waitcnt vmcnt(9)
	v_mul_f32_e32 v155, v34, v54
	v_mul_f32_e32 v30, v30, v51
	;; [unrolled: 1-line block ×4, first 2 shown]
	v_fma_f32 v4, v40, v127, -v4
	v_fma_f32 v49, v44, v129, -v145
	v_fmac_f32_e32 v41, v29, v40
	v_fmac_f32_e32 v45, v33, v44
	;; [unrolled: 1-line block ×5, first 2 shown]
	v_fma_f32 v21, v42, v134, -v43
	v_fma_f32 v10, v10, v136, -v11
	v_fma_f32 v11, v38, v132, -v39
	v_fma_f32 v23, v60, v48, -v149
	v_fma_f32 v28, v141, v52, -v150
	v_fmac_f32_e32 v151, v0, v48
	v_fmac_f32_e32 v152, v2, v52
	v_fma_f32 v0, v128, v50, -v30
	v_fma_f32 v2, v130, v54, -v34
	;; [unrolled: 1-line block ×3, first 2 shown]
	s_waitcnt vmcnt(8)
	v_mul_f32_e32 v29, v15, v67
	s_waitcnt vmcnt(7)
	v_mul_f32_e32 v30, v17, v75
	v_mul_f32_e32 v33, v138, v67
	s_waitcnt lgkmcnt(2)
	v_mul_f32_e32 v34, v63, v75
	v_mul_f32_e32 v38, v22, v64
	;; [unrolled: 1-line block ×3, first 2 shown]
	s_waitcnt vmcnt(6)
	v_mul_f32_e32 v40, v69, v135
	v_mul_f32_e32 v27, v27, v73
	;; [unrolled: 1-line block ×4, first 2 shown]
	v_fmac_f32_e32 v153, v126, v47
	v_fmac_f32_e32 v154, v128, v51
	v_add_f32_e32 v43, v4, v49
	v_sub_f32_e32 v44, v41, v45
	v_add_f32_e32 v46, v147, v148
	v_sub_f32_e32 v47, v21, v10
	v_add_f32_e32 v48, v21, v10
	v_add_f32_e32 v21, v11, v21
	v_add_f32_e32 v52, v41, v45
	v_add_f32_e32 v41, v18, v41
	v_add_f32_e32 v53, v146, v147
	v_add_f32_e32 v54, v23, v28
	v_sub_f32_e32 v67, v0, v2
	v_add_f32_e32 v69, v0, v2
	v_add_f32_e32 v126, v90, v23
	;; [unrolled: 1-line block ×3, first 2 shown]
	v_sub_f32_e32 v128, v23, v28
	v_fma_f32 v23, v138, v66, -v29
	v_fma_f32 v29, v74, v63, -v30
	v_fmac_f32_e32 v33, v15, v66
	v_fmac_f32_e32 v34, v17, v74
	;; [unrolled: 1-line block ×5, first 2 shown]
	v_fma_f32 v15, v133, v72, -v27
	v_fma_f32 v17, v68, v135, -v42
	;; [unrolled: 1-line block ×3, first 2 shown]
	s_waitcnt vmcnt(5)
	v_mul_f32_e32 v22, v14, v79
	s_waitcnt vmcnt(4)
	v_mul_f32_e32 v27, v16, v83
	v_mul_f32_e32 v30, v137, v79
	;; [unrolled: 1-line block ×5, first 2 shown]
	s_waitcnt vmcnt(3)
	v_mul_f32_e32 v65, v13, v88
	v_mul_f32_e32 v8, v8, v81
	;; [unrolled: 1-line block ×4, first 2 shown]
	v_add_f32_e32 v51, v125, v4
	v_fmac_f32_e32 v155, v130, v55
	v_sub_f32_e32 v50, v147, v148
	v_sub_f32_e32 v4, v4, v49
	v_fma_f32 v43, -0.5, v43, v125
	v_fma_f32 v46, -0.5, v46, v146
	;; [unrolled: 1-line block ×3, first 2 shown]
	v_add_f32_e32 v10, v21, v10
	v_fma_f32 v18, -0.5, v52, v18
	v_add_f32_e32 v21, v41, v45
	v_add_f32_e32 v41, v53, v148
	v_fma_f32 v66, -0.5, v54, v90
	v_fma_f32 v68, -0.5, v69, v19
	v_add_f32_e32 v69, v126, v28
	v_add_f32_e32 v72, v0, v2
	;; [unrolled: 1-line block ×3, first 2 shown]
	v_sub_f32_e32 v2, v33, v34
	v_add_f32_e32 v19, v39, v40
	v_sub_f32_e32 v28, v15, v17
	v_add_f32_e32 v45, v15, v17
	v_add_f32_e32 v15, v20, v15
	;; [unrolled: 1-line block ×4, first 2 shown]
	v_fma_f32 v22, v137, v78, -v22
	v_fma_f32 v27, v62, v82, -v27
	v_fmac_f32_e32 v30, v14, v78
	v_fmac_f32_e32 v42, v16, v82
	v_fmac_f32_e32 v63, v140, v77
	s_waitcnt lgkmcnt(1)
	v_fmac_f32_e32 v64, v71, v81
	v_fma_f32 v8, v71, v80, -v8
	s_waitcnt lgkmcnt(0)
	v_fma_f32 v16, v144, v88, -v13
	v_fma_f32 v54, v140, v76, -v6
	s_waitcnt vmcnt(2)
	v_mul_f32_e32 v62, v61, v87
	s_waitcnt vmcnt(1)
	v_mul_f32_e32 v71, v142, v124
	;; [unrolled: 2-line block ×3, first 2 shown]
	v_mul_f32_e32 v78, v7, v122
	v_mul_f32_e32 v12, v12, v59
	v_add_f32_e32 v48, v51, v49
	v_sub_f32_e32 v49, v39, v40
	v_add_f32_e32 v39, v38, v39
	v_sub_f32_e32 v75, v154, v155
	v_add_f32_e32 v51, v26, v23
	v_mul_f32_e32 v13, v1, v87
	v_mul_f32_e32 v14, v3, v124
	;; [unrolled: 1-line block ×4, first 2 shown]
	v_fmamk_f32 v80, v44, 0xbf5db3d7, v43
	v_fmamk_f32 v81, v47, 0x3f5db3d7, v46
	;; [unrolled: 1-line block ×3, first 2 shown]
	v_fmac_f32_e32 v43, 0x3f5db3d7, v44
	v_fmac_f32_e32 v46, 0xbf5db3d7, v47
	;; [unrolled: 1-line block ×3, first 2 shown]
	v_fmamk_f32 v44, v4, 0x3f5db3d7, v18
	v_fmac_f32_e32 v18, 0xbf5db3d7, v4
	v_sub_f32_e32 v4, v21, v41
	v_add_f32_e32 v6, v21, v41
	v_fma_f32 v41, -0.5, v0, v26
	v_fma_f32 v19, -0.5, v19, v38
	;; [unrolled: 1-line block ×3, first 2 shown]
	v_add_f32_e32 v15, v15, v17
	v_fma_f32 v45, -0.5, v52, v36
	v_add_f32_e32 v17, v33, v34
	v_sub_f32_e32 v33, v30, v42
	v_sub_f32_e32 v36, v8, v16
	v_add_f32_e32 v38, v8, v16
	v_add_f32_e32 v8, v54, v8
	;; [unrolled: 1-line block ×4, first 2 shown]
	v_fmac_f32_e32 v62, v1, v86
	v_fmac_f32_e32 v71, v3, v123
	v_fma_f32 v1, v70, v121, -v78
	v_fma_f32 v3, v143, v58, -v12
	v_fmac_f32_e32 v65, v144, v89
	v_add_f32_e32 v26, v39, v40
	v_add_f32_e32 v60, v154, v155
	v_sub_f32_e32 v53, v23, v29
	v_mul_f32_e32 v74, v5, v84
	v_sub_f32_e32 v5, v48, v10
	v_add_f32_e32 v7, v48, v10
	v_fmamk_f32 v21, v75, 0xbf5db3d7, v68
	v_add_f32_e32 v20, v51, v29
	v_add_f32_e32 v40, v32, v22
	;; [unrolled: 1-line block ×3, first 2 shown]
	v_fma_f32 v50, v61, v86, -v13
	v_fma_f32 v51, v142, v123, -v14
	v_fmac_f32_e32 v76, v70, v122
	v_fmac_f32_e32 v77, v143, v59
	v_fma_f32 v52, v139, v84, -v79
	v_mul_f32_e32 v58, 0.5, v11
	v_mul_f32_e32 v61, 0xbf5db3d7, v11
	v_fmamk_f32 v11, v49, 0xbf5db3d7, v0
	v_fmac_f32_e32 v0, 0x3f5db3d7, v49
	v_add_f32_e32 v8, v8, v16
	v_add_f32_e32 v16, v30, v42
	;; [unrolled: 1-line block ×3, first 2 shown]
	v_sub_f32_e32 v55, v151, v152
	v_add_f32_e32 v34, v64, v65
	v_sub_f32_e32 v39, v64, v65
	v_sub_f32_e32 v12, v17, v26
	v_add_f32_e32 v14, v17, v26
	v_fma_f32 v17, -0.5, v38, v54
	v_fma_f32 v60, -0.5, v60, v153
	v_fmac_f32_e32 v68, 0x3f5db3d7, v75
	v_add_f32_e32 v29, v22, v27
	v_sub_f32_e32 v22, v22, v27
	v_fmac_f32_e32 v74, v139, v85
	v_mul_f32_e32 v64, -0.5, v21
	v_mul_f32_e32 v75, 0xbf5db3d7, v21
	v_fmamk_f32 v21, v2, 0xbf5db3d7, v41
	v_fmamk_f32 v78, v28, 0x3f5db3d7, v19
	v_fmac_f32_e32 v41, 0x3f5db3d7, v2
	v_fmac_f32_e32 v19, 0xbf5db3d7, v28
	v_sub_f32_e32 v13, v20, v15
	v_fmamk_f32 v49, v53, 0x3f5db3d7, v45
	v_fmac_f32_e32 v45, 0xbf5db3d7, v53
	v_add_f32_e32 v15, v20, v15
	v_add_f32_e32 v2, v40, v27
	v_fma_f32 v53, -0.5, v47, v35
	v_add_f32_e32 v20, v48, v65
	v_add_f32_e32 v30, v50, v51
	;; [unrolled: 1-line block ×3, first 2 shown]
	v_sub_f32_e32 v40, v1, v3
	v_sub_f32_e32 v47, v76, v77
	v_add_f32_e32 v1, v52, v1
	v_fmac_f32_e32 v58, 0x3f5db3d7, v46
	v_mul_f32_e32 v65, 0.5, v0
	v_fma_f32 v42, -0.5, v42, v52
	v_fmamk_f32 v83, v55, 0xbf5db3d7, v66
	v_fmac_f32_e32 v66, 0x3f5db3d7, v55
	v_mul_f32_e32 v55, -0.5, v82
	v_fma_f32 v34, -0.5, v34, v63
	v_add_f32_e32 v54, v62, v71
	v_fmamk_f32 v84, v39, 0xbf5db3d7, v17
	v_fmac_f32_e32 v17, 0x3f5db3d7, v39
	v_fmamk_f32 v10, v67, 0x3f5db3d7, v60
	v_add_f32_e32 v63, v74, v76
	v_fmac_f32_e32 v61, 0.5, v46
	v_mul_f32_e32 v46, -0.5, v11
	v_mul_f32_e32 v76, 0xbf5db3d7, v11
	v_mul_f32_e32 v79, 0xbf5db3d7, v0
	v_fmamk_f32 v85, v22, 0x3f5db3d7, v53
	v_fmac_f32_e32 v53, 0xbf5db3d7, v22
	v_sub_f32_e32 v26, v16, v20
	v_add_f32_e32 v28, v16, v20
	v_fma_f32 v22, -0.5, v30, v37
	v_fma_f32 v30, -0.5, v35, v74
	v_add_f32_e32 v20, v1, v3
	v_sub_f32_e32 v3, v43, v58
	v_add_f32_e32 v11, v43, v58
	v_fmac_f32_e32 v65, 0x3f5db3d7, v19
	v_fmamk_f32 v43, v47, 0xbf5db3d7, v42
	v_mul_f32_e32 v59, 0xbf5db3d7, v82
	v_add_f32_e32 v48, v37, v50
	v_fmac_f32_e32 v55, 0x3f5db3d7, v81
	v_fmamk_f32 v82, v36, 0x3f5db3d7, v34
	v_fmac_f32_e32 v34, 0xbf5db3d7, v36
	v_fma_f32 v74, -0.5, v54, v9
	v_mul_f32_e32 v54, 0.5, v17
	v_mul_f32_e32 v58, 0xbf5db3d7, v17
	v_fmac_f32_e32 v42, 0x3f5db3d7, v47
	v_fma_f32 v32, -0.5, v29, v32
	v_sub_f32_e32 v38, v62, v71
	v_sub_f32_e32 v50, v50, v51
	v_add_f32_e32 v62, v9, v62
	v_fmac_f32_e32 v64, 0x3f5db3d7, v10
	v_fmac_f32_e32 v75, -0.5, v10
	v_sub_f32_e32 v27, v2, v8
	v_add_f32_e32 v29, v2, v8
	v_sub_f32_e32 v2, v18, v61
	v_add_f32_e32 v10, v18, v61
	v_fmac_f32_e32 v79, 0.5, v19
	v_fmamk_f32 v61, v40, 0x3f5db3d7, v30
	v_sub_f32_e32 v19, v41, v65
	v_add_f32_e32 v41, v41, v65
	v_mul_f32_e32 v65, 0xbf5db3d7, v43
	v_fmac_f32_e32 v59, -0.5, v81
	v_add_f32_e32 v16, v48, v51
	v_add_f32_e32 v51, v63, v77
	v_sub_f32_e32 v1, v80, v55
	v_add_f32_e32 v9, v80, v55
	v_mul_f32_e32 v55, 0xbf5db3d7, v84
	v_fmac_f32_e32 v30, 0xbf5db3d7, v40
	v_fmac_f32_e32 v54, 0x3f5db3d7, v34
	v_fmac_f32_e32 v58, 0.5, v34
	v_mul_f32_e32 v34, -0.5, v43
	v_mul_f32_e32 v63, 0.5, v42
	v_add_f32_e32 v127, v151, v152
	v_fmamk_f32 v81, v33, 0xbf5db3d7, v32
	v_fmac_f32_e32 v32, 0x3f5db3d7, v33
	v_add_f32_e32 v48, v62, v71
	v_fmac_f32_e32 v76, -0.5, v78
	v_fmamk_f32 v62, v50, 0x3f5db3d7, v74
	v_fmac_f32_e32 v65, -0.5, v61
	v_sub_f32_e32 v0, v44, v59
	v_add_f32_e32 v8, v44, v59
	v_fmac_f32_e32 v46, 0x3f5db3d7, v78
	v_mul_f32_e32 v52, -0.5, v84
	v_fmamk_f32 v59, v38, 0xbf5db3d7, v22
	v_fmac_f32_e32 v22, 0x3f5db3d7, v38
	v_fmac_f32_e32 v55, -0.5, v82
	v_mul_f32_e32 v71, 0xbf5db3d7, v42
	v_fmac_f32_e32 v34, 0x3f5db3d7, v61
	v_fmac_f32_e32 v63, 0x3f5db3d7, v30
	v_fma_f32 v73, -0.5, v127, v31
	v_fmac_f32_e32 v60, 0xbf5db3d7, v67
	v_sub_f32_e32 v37, v16, v20
	v_fmac_f32_e32 v74, 0xbf5db3d7, v50
	v_add_f32_e32 v39, v16, v20
	v_sub_f32_e32 v16, v49, v76
	v_sub_f32_e32 v18, v45, v79
	v_add_f32_e32 v20, v49, v76
	v_add_f32_e32 v40, v45, v79
	v_sub_f32_e32 v45, v32, v54
	v_add_f32_e32 v49, v32, v54
	v_sub_f32_e32 v50, v62, v65
	v_add_f32_e32 v54, v62, v65
	v_mul_f32_e32 v62, 0xbf5db3d7, v68
	v_sub_f32_e32 v23, v69, v72
	v_mul_f32_e32 v70, 0.5, v68
	v_sub_f32_e32 v36, v48, v51
	v_add_f32_e32 v38, v48, v51
	v_sub_f32_e32 v17, v21, v46
	v_add_f32_e32 v21, v21, v46
	v_fmac_f32_e32 v52, 0x3f5db3d7, v82
	v_sub_f32_e32 v42, v85, v55
	v_sub_f32_e32 v44, v53, v58
	v_add_f32_e32 v46, v85, v55
	v_fmac_f32_e32 v71, 0.5, v30
	v_add_f32_e32 v48, v53, v58
	v_sub_f32_e32 v51, v59, v34
	v_sub_f32_e32 v53, v22, v63
	v_add_f32_e32 v55, v59, v34
	v_add_f32_e32 v59, v22, v63
	;; [unrolled: 1-line block ×4, first 2 shown]
	v_mov_b32_e32 v22, v57
	v_fmamk_f32 v67, v128, 0x3f5db3d7, v73
	v_fmac_f32_e32 v73, 0xbf5db3d7, v128
	v_fmac_f32_e32 v62, 0.5, v60
	v_fmac_f32_e32 v70, 0x3f5db3d7, v60
	v_sub_f32_e32 v43, v81, v52
	v_add_f32_e32 v47, v81, v52
	v_sub_f32_e32 v52, v74, v71
	v_add_f32_e32 v58, v74, v71
	v_add_f32_e32 v68, v30, v152
	;; [unrolled: 1-line block ×3, first 2 shown]
	v_mad_u64_u32 v[30:31], null, s3, v119, v[22:23]
	v_mad_u64_u32 v[60:61], null, s2, v120, 0
	v_sub_f32_e32 v34, v73, v62
	v_add_f32_e32 v62, v73, v62
	v_sub_f32_e32 v35, v66, v70
	v_sub_f32_e32 v32, v67, v75
	v_add_f32_e32 v63, v66, v70
	v_mov_b32_e32 v57, v30
	v_add_f32_e32 v30, v67, v75
	v_mad_u64_u32 v[66:67], null, s3, v120, v[61:62]
	v_sub_f32_e32 v33, v83, v64
	v_sub_f32_e32 v22, v68, v71
	v_add_f32_e32 v31, v83, v64
	v_add_f32_e32 v65, v69, v72
	;; [unrolled: 1-line block ×3, first 2 shown]
	v_mad_u64_u32 v[67:68], null, s2, v118, 0
	v_mad_u64_u32 v[69:70], null, s2, v117, 0
	v_add_co_u32 v73, vcc_lo, s12, v24
	v_add_co_ci_u32_e32 v74, vcc_lo, s13, v25, vcc_lo
	v_mov_b32_e32 v24, v68
	v_mov_b32_e32 v61, v66
	;; [unrolled: 1-line block ×3, first 2 shown]
	v_lshlrev_b64 v[56:57], 3, v[56:57]
	v_lshlrev_b64 v[60:61], 3, v[60:61]
	v_mad_u64_u32 v[70:71], null, s3, v118, v[24:25]
	v_mad_u64_u32 v[24:25], null, s3, v117, v[25:26]
	;; [unrolled: 1-line block ×3, first 2 shown]
	v_add_co_u32 v56, vcc_lo, v73, v56
	v_add_co_ci_u32_e32 v57, vcc_lo, v74, v57, vcc_lo
	v_add_co_u32 v60, vcc_lo, v73, v60
	v_add_co_ci_u32_e32 v61, vcc_lo, v74, v61, vcc_lo
	v_mov_b32_e32 v68, v70
	v_mov_b32_e32 v70, v24
	;; [unrolled: 1-line block ×3, first 2 shown]
	global_store_dwordx2 v[56:57], v[64:65], off
	global_store_dwordx2 v[60:61], v[62:63], off
	v_mad_u64_u32 v[62:63], null, s2, v115, 0
	v_mad_u64_u32 v[24:25], null, s3, v116, v[24:25]
	;; [unrolled: 1-line block ×3, first 2 shown]
	v_lshlrev_b64 v[56:57], 3, v[67:68]
	v_lshlrev_b64 v[60:61], 3, v[69:70]
	v_mov_b32_e32 v72, v24
	v_mov_b32_e32 v24, v63
	;; [unrolled: 1-line block ×3, first 2 shown]
	v_add_co_u32 v56, vcc_lo, v73, v56
	v_add_co_ci_u32_e32 v57, vcc_lo, v74, v57, vcc_lo
	v_mad_u64_u32 v[67:68], null, s3, v115, v[24:25]
	v_mad_u64_u32 v[68:69], null, s2, v114, 0
	v_lshlrev_b64 v[65:66], 3, v[71:72]
	v_add_co_u32 v60, vcc_lo, v73, v60
	v_add_co_ci_u32_e32 v61, vcc_lo, v74, v61, vcc_lo
	v_mad_u64_u32 v[24:25], null, s3, v113, v[25:26]
	v_add_co_u32 v65, vcc_lo, v73, v65
	global_store_dwordx2 v[56:57], v[30:31], off
	global_store_dwordx2 v[60:61], v[22:23], off
	v_mov_b32_e32 v22, v69
	v_add_co_ci_u32_e32 v66, vcc_lo, v74, v66, vcc_lo
	v_mov_b32_e32 v63, v67
	v_mad_u64_u32 v[60:61], null, s2, v110, 0
	v_mad_u64_u32 v[22:23], null, s3, v114, v[22:23]
	global_store_dwordx2 v[65:66], v[34:35], off
	v_mad_u64_u32 v[34:35], null, s2, v111, 0
	v_mov_b32_e32 v65, v24
	v_mad_u64_u32 v[23:24], null, s2, v112, 0
	v_lshlrev_b64 v[30:31], 3, v[62:63]
	v_mov_b32_e32 v69, v22
	v_lshlrev_b64 v[56:57], 3, v[64:65]
	v_mov_b32_e32 v22, v35
	v_mad_u64_u32 v[24:25], null, s3, v112, v[24:25]
	v_mov_b32_e32 v25, v61
	v_add_co_u32 v30, vcc_lo, v73, v30
	v_lshlrev_b64 v[62:63], 3, v[68:69]
	v_mad_u64_u32 v[64:65], null, s3, v111, v[22:23]
	v_add_co_ci_u32_e32 v31, vcc_lo, v74, v31, vcc_lo
	v_add_co_u32 v56, vcc_lo, v73, v56
	v_mad_u64_u32 v[65:66], null, s3, v110, v[25:26]
	v_add_co_ci_u32_e32 v57, vcc_lo, v74, v57, vcc_lo
	v_add_co_u32 v61, vcc_lo, v73, v62
	v_add_co_ci_u32_e32 v62, vcc_lo, v74, v63, vcc_lo
	v_mov_b32_e32 v35, v64
	v_lshlrev_b64 v[22:23], 3, v[23:24]
	global_store_dwordx2 v[30:31], v[32:33], off
	global_store_dwordx2 v[56:57], v[38:39], off
	;; [unrolled: 1-line block ×3, first 2 shown]
	v_mov_b32_e32 v61, v65
	v_lshlrev_b64 v[24:25], 3, v[34:35]
	v_mad_u64_u32 v[30:31], null, s2, v109, 0
	v_add_co_u32 v22, vcc_lo, v73, v22
	v_lshlrev_b64 v[32:33], 3, v[60:61]
	v_add_co_ci_u32_e32 v23, vcc_lo, v74, v23, vcc_lo
	v_add_co_u32 v24, vcc_lo, v73, v24
	v_add_co_ci_u32_e32 v25, vcc_lo, v74, v25, vcc_lo
	v_mad_u64_u32 v[34:35], null, s2, v105, 0
	v_add_co_u32 v32, vcc_lo, v73, v32
	v_mad_u64_u32 v[56:57], null, s2, v108, 0
	v_mad_u64_u32 v[58:59], null, s2, v107, 0
	;; [unrolled: 1-line block ×3, first 2 shown]
	v_mov_b32_e32 v31, v35
	v_add_co_ci_u32_e32 v33, vcc_lo, v74, v33, vcc_lo
	global_store_dwordx2 v[22:23], v[54:55], off
	global_store_dwordx2 v[24:25], v[36:37], off
	;; [unrolled: 1-line block ×3, first 2 shown]
	v_mad_u64_u32 v[60:61], null, s3, v105, v[31:32]
	v_mov_b32_e32 v31, v38
	v_mov_b32_e32 v22, v57
	;; [unrolled: 1-line block ×3, first 2 shown]
	v_mad_u64_u32 v[52:53], null, s2, v103, 0
	v_lshlrev_b64 v[23:24], 3, v[30:31]
	v_mov_b32_e32 v35, v60
	v_mad_u64_u32 v[36:37], null, s2, v104, 0
	v_mad_u64_u32 v[54:55], null, s2, v101, 0
	;; [unrolled: 1-line block ×4, first 2 shown]
	v_add_co_u32 v22, vcc_lo, v73, v23
	v_mad_u64_u32 v[32:33], null, s2, v106, 0
	v_add_co_ci_u32_e32 v23, vcc_lo, v74, v24, vcc_lo
	v_mov_b32_e32 v59, v31
	v_lshlrev_b64 v[24:25], 3, v[34:35]
	v_mov_b32_e32 v57, v30
	v_lshlrev_b64 v[34:35], 3, v[58:59]
	v_lshlrev_b64 v[30:31], 3, v[56:57]
	v_add_co_u32 v24, vcc_lo, v73, v24
	v_add_co_ci_u32_e32 v25, vcc_lo, v74, v25, vcc_lo
	v_mad_u64_u32 v[38:39], null, s3, v106, v[33:34]
	v_mov_b32_e32 v39, v53
	v_add_co_u32 v30, vcc_lo, v73, v30
	v_add_co_ci_u32_e32 v31, vcc_lo, v74, v31, vcc_lo
	global_store_dwordx2 v[22:23], v[50:51], off
	global_store_dwordx2 v[24:25], v[28:29], off
	;; [unrolled: 1-line block ×3, first 2 shown]
	v_mov_b32_e32 v33, v38
	v_mad_u64_u32 v[37:38], null, s3, v104, v[37:38]
	v_mad_u64_u32 v[38:39], null, s3, v103, v[39:40]
	v_mov_b32_e32 v24, v55
	v_lshlrev_b64 v[22:23], 3, v[32:33]
	v_add_co_u32 v34, vcc_lo, v73, v34
	v_lshlrev_b64 v[28:29], 3, v[36:37]
	v_mad_u64_u32 v[24:25], null, s3, v101, v[24:25]
	v_mov_b32_e32 v53, v38
	v_add_co_ci_u32_e32 v35, vcc_lo, v74, v35, vcc_lo
	v_add_co_u32 v22, vcc_lo, v73, v22
	v_mad_u64_u32 v[32:33], null, s2, v102, 0
	v_lshlrev_b64 v[30:31], 3, v[52:53]
	v_add_co_ci_u32_e32 v23, vcc_lo, v74, v23, vcc_lo
	v_mov_b32_e32 v55, v24
	v_add_co_u32 v28, vcc_lo, v73, v28
	v_add_co_ci_u32_e32 v29, vcc_lo, v74, v29, vcc_lo
	global_store_dwordx2 v[34:35], v[46:47], off
	v_add_co_u32 v30, vcc_lo, v73, v30
	global_store_dwordx2 v[22:23], v[26:27], off
	v_lshlrev_b64 v[23:24], 3, v[54:55]
	v_mov_b32_e32 v22, v33
	v_add_co_ci_u32_e32 v31, vcc_lo, v74, v31, vcc_lo
	global_store_dwordx2 v[28:29], v[44:45], off
	global_store_dwordx2 v[30:31], v[42:43], off
	v_mad_u64_u32 v[25:26], null, s3, v102, v[22:23]
	v_mad_u64_u32 v[28:29], null, s2, v98, 0
	v_mad_u64_u32 v[26:27], null, s2, v100, 0
	v_add_co_u32 v22, vcc_lo, v73, v23
	v_add_co_ci_u32_e32 v23, vcc_lo, v74, v24, vcc_lo
	v_mad_u64_u32 v[30:31], null, s2, v99, 0
	v_mov_b32_e32 v33, v25
	global_store_dwordx2 v[22:23], v[14:15], off
	v_mov_b32_e32 v14, v29
	v_mov_b32_e32 v24, v27
	v_lshlrev_b64 v[22:23], 3, v[32:33]
	v_mad_u64_u32 v[32:33], null, s2, v97, 0
	v_mad_u64_u32 v[14:15], null, s3, v98, v[14:15]
	;; [unrolled: 1-line block ×3, first 2 shown]
	v_mov_b32_e32 v15, v31
	v_add_co_u32 v22, vcc_lo, v73, v22
	v_add_co_ci_u32_e32 v23, vcc_lo, v74, v23, vcc_lo
	v_mov_b32_e32 v29, v14
	v_mad_u64_u32 v[14:15], null, s3, v99, v[15:16]
	v_mov_b32_e32 v27, v24
	v_mov_b32_e32 v15, v33
	global_store_dwordx2 v[22:23], v[40:41], off
	v_lshlrev_b64 v[24:25], 3, v[28:29]
	v_lshlrev_b64 v[22:23], 3, v[26:27]
	v_mad_u64_u32 v[26:27], null, s3, v97, v[15:16]
	v_mad_u64_u32 v[27:28], null, s2, v96, 0
	v_mov_b32_e32 v31, v14
	v_add_co_u32 v14, vcc_lo, v73, v22
	v_add_co_ci_u32_e32 v15, vcc_lo, v74, v23, vcc_lo
	v_mov_b32_e32 v33, v26
	v_mov_b32_e32 v26, v28
	v_lshlrev_b64 v[22:23], 3, v[30:31]
	v_add_co_u32 v24, vcc_lo, v73, v24
	v_lshlrev_b64 v[28:29], 3, v[32:33]
	v_mad_u64_u32 v[30:31], null, s3, v96, v[26:27]
	v_add_co_ci_u32_e32 v25, vcc_lo, v74, v25, vcc_lo
	v_add_co_u32 v22, vcc_lo, v73, v22
	v_add_co_ci_u32_e32 v23, vcc_lo, v74, v23, vcc_lo
	v_mad_u64_u32 v[31:32], null, s2, v94, 0
	v_add_co_u32 v33, vcc_lo, v73, v28
	v_add_co_ci_u32_e32 v34, vcc_lo, v74, v29, vcc_lo
	v_mov_b32_e32 v28, v30
	global_store_dwordx2 v[14:15], v[20:21], off
	global_store_dwordx2 v[24:25], v[12:13], off
	;; [unrolled: 1-line block ×4, first 2 shown]
	v_mad_u64_u32 v[15:16], null, s2, v95, 0
	v_mad_u64_u32 v[17:18], null, s2, v93, 0
	v_mov_b32_e32 v14, v32
	v_lshlrev_b64 v[12:13], 3, v[27:28]
	v_mad_u64_u32 v[19:20], null, s3, v94, v[14:15]
	v_mov_b32_e32 v14, v16
	v_mov_b32_e32 v16, v18
	v_mad_u64_u32 v[20:21], null, s2, v91, 0
	v_add_co_u32 v12, vcc_lo, v73, v12
	v_add_co_ci_u32_e32 v13, vcc_lo, v74, v13, vcc_lo
	v_mad_u64_u32 v[22:23], null, s3, v95, v[14:15]
	v_mad_u64_u32 v[23:24], null, s3, v93, v[16:17]
	;; [unrolled: 1-line block ×3, first 2 shown]
	global_store_dwordx2 v[12:13], v[6:7], off
	v_mov_b32_e32 v6, v21
	v_mov_b32_e32 v32, v19
	;; [unrolled: 1-line block ×4, first 2 shown]
	v_mad_u64_u32 v[6:7], null, s3, v91, v[6:7]
	v_mov_b32_e32 v7, v25
	v_lshlrev_b64 v[12:13], 3, v[31:32]
	v_lshlrev_b64 v[14:15], 3, v[15:16]
	;; [unrolled: 1-line block ×3, first 2 shown]
	v_mad_u64_u32 v[22:23], null, s3, v92, v[7:8]
	v_add_co_u32 v12, vcc_lo, v73, v12
	v_mov_b32_e32 v21, v6
	v_add_co_ci_u32_e32 v13, vcc_lo, v74, v13, vcc_lo
	v_add_co_u32 v6, vcc_lo, v73, v14
	v_mov_b32_e32 v25, v22
	v_add_co_ci_u32_e32 v7, vcc_lo, v74, v15, vcc_lo
	v_lshlrev_b64 v[14:15], 3, v[20:21]
	v_add_co_u32 v16, vcc_lo, v73, v16
	v_lshlrev_b64 v[18:19], 3, v[24:25]
	v_add_co_ci_u32_e32 v17, vcc_lo, v74, v17, vcc_lo
	v_add_co_u32 v14, vcc_lo, v73, v14
	v_add_co_ci_u32_e32 v15, vcc_lo, v74, v15, vcc_lo
	v_add_co_u32 v18, vcc_lo, v73, v18
	v_add_co_ci_u32_e32 v19, vcc_lo, v74, v19, vcc_lo
	global_store_dwordx2 v[12:13], v[10:11], off
	global_store_dwordx2 v[6:7], v[8:9], off
	;; [unrolled: 1-line block ×5, first 2 shown]
.LBB0_23:
	s_endpgm
	.section	.rodata,"a",@progbits
	.p2align	6, 0x0
	.amdhsa_kernel fft_rtc_back_len480_factors_10_8_6_wgs_64_tpt_16_halfLds_sp_ip_CI_sbrr_dirReg
		.amdhsa_group_segment_fixed_size 0
		.amdhsa_private_segment_fixed_size 0
		.amdhsa_kernarg_size 88
		.amdhsa_user_sgpr_count 6
		.amdhsa_user_sgpr_private_segment_buffer 1
		.amdhsa_user_sgpr_dispatch_ptr 0
		.amdhsa_user_sgpr_queue_ptr 0
		.amdhsa_user_sgpr_kernarg_segment_ptr 1
		.amdhsa_user_sgpr_dispatch_id 0
		.amdhsa_user_sgpr_flat_scratch_init 0
		.amdhsa_user_sgpr_private_segment_size 0
		.amdhsa_wavefront_size32 1
		.amdhsa_uses_dynamic_stack 0
		.amdhsa_system_sgpr_private_segment_wavefront_offset 0
		.amdhsa_system_sgpr_workgroup_id_x 1
		.amdhsa_system_sgpr_workgroup_id_y 0
		.amdhsa_system_sgpr_workgroup_id_z 0
		.amdhsa_system_sgpr_workgroup_info 0
		.amdhsa_system_vgpr_workitem_id 0
		.amdhsa_next_free_vgpr 180
		.amdhsa_next_free_sgpr 23
		.amdhsa_reserve_vcc 1
		.amdhsa_reserve_flat_scratch 0
		.amdhsa_float_round_mode_32 0
		.amdhsa_float_round_mode_16_64 0
		.amdhsa_float_denorm_mode_32 3
		.amdhsa_float_denorm_mode_16_64 3
		.amdhsa_dx10_clamp 1
		.amdhsa_ieee_mode 1
		.amdhsa_fp16_overflow 0
		.amdhsa_workgroup_processor_mode 1
		.amdhsa_memory_ordered 1
		.amdhsa_forward_progress 0
		.amdhsa_shared_vgpr_count 0
		.amdhsa_exception_fp_ieee_invalid_op 0
		.amdhsa_exception_fp_denorm_src 0
		.amdhsa_exception_fp_ieee_div_zero 0
		.amdhsa_exception_fp_ieee_overflow 0
		.amdhsa_exception_fp_ieee_underflow 0
		.amdhsa_exception_fp_ieee_inexact 0
		.amdhsa_exception_int_div_zero 0
	.end_amdhsa_kernel
	.text
.Lfunc_end0:
	.size	fft_rtc_back_len480_factors_10_8_6_wgs_64_tpt_16_halfLds_sp_ip_CI_sbrr_dirReg, .Lfunc_end0-fft_rtc_back_len480_factors_10_8_6_wgs_64_tpt_16_halfLds_sp_ip_CI_sbrr_dirReg
                                        ; -- End function
	.section	.AMDGPU.csdata,"",@progbits
; Kernel info:
; codeLenInByte = 13240
; NumSgprs: 25
; NumVgprs: 180
; ScratchSize: 0
; MemoryBound: 0
; FloatMode: 240
; IeeeMode: 1
; LDSByteSize: 0 bytes/workgroup (compile time only)
; SGPRBlocks: 3
; VGPRBlocks: 22
; NumSGPRsForWavesPerEU: 25
; NumVGPRsForWavesPerEU: 180
; Occupancy: 5
; WaveLimiterHint : 1
; COMPUTE_PGM_RSRC2:SCRATCH_EN: 0
; COMPUTE_PGM_RSRC2:USER_SGPR: 6
; COMPUTE_PGM_RSRC2:TRAP_HANDLER: 0
; COMPUTE_PGM_RSRC2:TGID_X_EN: 1
; COMPUTE_PGM_RSRC2:TGID_Y_EN: 0
; COMPUTE_PGM_RSRC2:TGID_Z_EN: 0
; COMPUTE_PGM_RSRC2:TIDIG_COMP_CNT: 0
	.text
	.p2alignl 6, 3214868480
	.fill 48, 4, 3214868480
	.type	__hip_cuid_d719f9785722176a,@object ; @__hip_cuid_d719f9785722176a
	.section	.bss,"aw",@nobits
	.globl	__hip_cuid_d719f9785722176a
__hip_cuid_d719f9785722176a:
	.byte	0                               ; 0x0
	.size	__hip_cuid_d719f9785722176a, 1

	.ident	"AMD clang version 19.0.0git (https://github.com/RadeonOpenCompute/llvm-project roc-6.4.0 25133 c7fe45cf4b819c5991fe208aaa96edf142730f1d)"
	.section	".note.GNU-stack","",@progbits
	.addrsig
	.addrsig_sym __hip_cuid_d719f9785722176a
	.amdgpu_metadata
---
amdhsa.kernels:
  - .args:
      - .actual_access:  read_only
        .address_space:  global
        .offset:         0
        .size:           8
        .value_kind:     global_buffer
      - .offset:         8
        .size:           8
        .value_kind:     by_value
      - .actual_access:  read_only
        .address_space:  global
        .offset:         16
        .size:           8
        .value_kind:     global_buffer
      - .actual_access:  read_only
        .address_space:  global
        .offset:         24
        .size:           8
        .value_kind:     global_buffer
      - .offset:         32
        .size:           8
        .value_kind:     by_value
      - .actual_access:  read_only
        .address_space:  global
        .offset:         40
        .size:           8
        .value_kind:     global_buffer
      - .actual_access:  read_only
        .address_space:  global
        .offset:         48
        .size:           8
        .value_kind:     global_buffer
      - .offset:         56
        .size:           4
        .value_kind:     by_value
      - .actual_access:  read_only
        .address_space:  global
        .offset:         64
        .size:           8
        .value_kind:     global_buffer
      - .actual_access:  read_only
        .address_space:  global
        .offset:         72
        .size:           8
        .value_kind:     global_buffer
      - .address_space:  global
        .offset:         80
        .size:           8
        .value_kind:     global_buffer
    .group_segment_fixed_size: 0
    .kernarg_segment_align: 8
    .kernarg_segment_size: 88
    .language:       OpenCL C
    .language_version:
      - 2
      - 0
    .max_flat_workgroup_size: 64
    .name:           fft_rtc_back_len480_factors_10_8_6_wgs_64_tpt_16_halfLds_sp_ip_CI_sbrr_dirReg
    .private_segment_fixed_size: 0
    .sgpr_count:     25
    .sgpr_spill_count: 0
    .symbol:         fft_rtc_back_len480_factors_10_8_6_wgs_64_tpt_16_halfLds_sp_ip_CI_sbrr_dirReg.kd
    .uniform_work_group_size: 1
    .uses_dynamic_stack: false
    .vgpr_count:     180
    .vgpr_spill_count: 0
    .wavefront_size: 32
    .workgroup_processor_mode: 1
amdhsa.target:   amdgcn-amd-amdhsa--gfx1030
amdhsa.version:
  - 1
  - 2
...

	.end_amdgpu_metadata
